;; amdgpu-corpus repo=ROCm/aiter kind=harvested arch=n/a opt=n/a

/root/src/amdgpu-assembly/repos/ROCm__aiter/hsa/gfx950/fmoe_2stages/fmoe_stage1_bf16_pertokenFp8_doweight_g1u1_16x256_2tg_pf3.co:	file format elf64-amdgpu

Disassembly of section .text:

0000000000002a00 <_ZN5aiter57fmoe_stage1_bf16_pertokenFp8_doweight_g1u1_16x256_2tg_pf3E>:
	s_and_b32 s1, s1, 0xffff                                   // 000000002A00: 8601FF01 0000FFFF
	s_load_dwordx2 s[8:9], s[0:1], 0x0                         // 000000002A08: C0060200 00000000
	s_load_dwordx2 s[20:21], s[0:1], 0x10                      // 000000002A10: C0060500 00000010
	s_load_dwordx2 s[24:25], s[0:1], 0x20                      // 000000002A18: C0060600 00000020
	s_load_dwordx2 s[48:49], s[0:1], 0x30                      // 000000002A20: C0060C00 00000030
	s_load_dwordx2 s[28:29], s[0:1], 0x40                      // 000000002A28: C0060700 00000040
	s_load_dwordx2 s[32:33], s[0:1], 0x50                      // 000000002A30: C0060800 00000050
	s_load_dwordx2 s[36:37], s[0:1], 0x60                      // 000000002A38: C0060900 00000060
	s_load_dwordx2 s[12:13], s[0:1], 0x70                      // 000000002A40: C0060300 00000070
	s_load_dwordx2 s[44:45], s[0:1], 0x80                      // 000000002A48: C0060B00 00000080
	s_mov_b32 s89, 0                                           // 000000002A50: BED90080
	s_load_dword s64, s[0:1], 0x90                             // 000000002A54: C0021000 00000090
	s_load_dword s65, s[0:1], 0xa0                             // 000000002A5C: C0021040 000000A0
	s_load_dword s66, s[0:1], 0xb0                             // 000000002A64: C0021080 000000B0
	s_load_dword s67, s[0:1], 0xc0                             // 000000002A6C: C00210C0 000000C0
	s_load_dword s68, s[0:1], 0xd0                             // 000000002A74: C0021100 000000D0
	s_load_dword s69, s[0:1], 0xe0                             // 000000002A7C: C0021140 000000E0
	s_load_dword s71, s[0:1], 0xf0                             // 000000002A84: C00211C0 000000F0
	s_load_dword s72, s[0:1], 0x100                            // 000000002A8C: C0021200 00000100
	s_load_dword s74, s[0:1], 0x110                            // 000000002A94: C0021280 00000110
	s_load_dword s76, s[0:1], 0x120                            // 000000002A9C: C0021300 00000120
	s_load_dword s56, s[0:1], 0x130                            // 000000002AA4: C0020E00 00000130
	s_load_dword s88, s[0:1], 0x140                            // 000000002AAC: C0021600 00000140
	s_load_dword s89, s[0:1], 0x150                            // 000000002AB4: C0021640 00000150
	s_load_dwordx2 s[40:41], s[0:1], 0x160                     // 000000002ABC: C0060A00 00000160
	v_lshrrev_b32_e32 v1, 10, v0                               // 000000002AC4: 2002008A
	v_lshrrev_b32_e32 v2, 10, v1                               // 000000002AC8: 2004028A
	v_and_b32_e32 v2, 0x3ff, v2                                // 000000002ACC: 260404FF 000003FF
	v_and_b32_e32 v1, 0x3ff, v1                                // 000000002AD4: 260202FF 000003FF
	v_and_b32_e32 v0, 0x3ff, v0                                // 000000002ADC: 260000FF 000003FF
	v_lshrrev_b32_e32 v3, 6, v0                                // 000000002AE4: 20060086
	v_and_b32_e32 v0, 63, v0                                   // 000000002AE8: 260000BF
	s_mov_b32 s2, s2                                           // 000000002AEC: BE820002
	s_mov_b32 s3, s3                                           // 000000002AF0: BE830003
	s_mov_b32 s4, s4                                           // 000000002AF4: BE840004
	v_readfirstlane_b32 s7, v3                                 // 000000002AF8: 7E0E0503
	s_waitcnt lgkmcnt(0)                                       // 000000002AFC: BF8CC07F
	s_and_b32 s49, s49, 0xffff                                 // 000000002B00: 8631FF31 0000FFFF
	s_load_dword s48, s[48:49], 0x0                            // 000000002B08: C0020C18 00000000
	s_and_b32 s45, s45, 0xffff                                 // 000000002B10: 862DFF2D 0000FFFF
	s_and_b32 s9, s9, 0xffff                                   // 000000002B18: 8609FF09 0000FFFF
	s_mul_i32 s60, s66, s68                                    // 000000002B20: 923C4442
	s_mul_i32 s61, s66, 4                                      // 000000002B24: 923D8442
	s_mov_b32 s22, s60                                         // 000000002B28: BE96003C
	s_mov_b32 s26, -16                                         // 000000002B2C: BE9A00D0
	s_mov_b32 s30, s61                                         // 000000002B30: BE9E003D
	s_mov_b32 s14, 64                                          // 000000002B34: BE8E00C0
	s_mov_b32 s38, -16                                         // 000000002B38: BEA600D0
	s_mov_b32 s10, -16                                         // 000000002B3C: BE8A00D0
	s_mov_b32 s34, 0x400                                       // 000000002B40: BEA200FF 00000400
	s_mov_b32 s23, 0x20000                                     // 000000002B48: BE9700FF 00020000
	s_mov_b32 s27, 0x20000                                     // 000000002B50: BE9B00FF 00020000
	s_mov_b32 s31, 0x20000                                     // 000000002B58: BE9F00FF 00020000
	s_mov_b32 s35, 0x20000                                     // 000000002B60: BEA300FF 00020000
	s_mov_b32 s15, 0x20000                                     // 000000002B68: BE8F00FF 00020000
	s_mov_b32 s39, 0x20000                                     // 000000002B70: BEA700FF 00020000
	s_mov_b32 s11, 0x20000                                     // 000000002B78: BE8B00FF 00020000
	s_and_b32 s21, s21, 0xffff                                 // 000000002B80: 8615FF15 0000FFFF
	s_and_b32 s25, s25, 0xffff                                 // 000000002B88: 8619FF19 0000FFFF
	s_and_b32 s29, s29, 0xffff                                 // 000000002B90: 861DFF1D 0000FFFF
	s_and_b32 s33, s33, 0xffff                                 // 000000002B98: 8621FF21 0000FFFF
	s_and_b32 s13, s13, 0xffff                                 // 000000002BA0: 860DFF0D 0000FFFF
	s_and_b32 s37, s37, 0xffff                                 // 000000002BA8: 8625FF25 0000FFFF
	s_or_b32 s21, s21, 0x40000                                 // 000000002BB0: 8715FF15 00040000
	s_or_b32 s25, s25, 0x40000                                 // 000000002BB8: 8719FF19 00040000
	s_or_b32 s29, s29, 0x40000                                 // 000000002BC0: 871DFF1D 00040000
	s_or_b32 s33, s33, 0x40000                                 // 000000002BC8: 8721FF21 00040000
	s_or_b32 s13, s13, 0x40000                                 // 000000002BD0: 870DFF0D 00040000
	s_or_b32 s37, s37, 0x40000                                 // 000000002BD8: 8725FF25 00040000
	s_mov_b32 s42, -16                                         // 000000002BE0: BEAA00D0
	s_mov_b32 s43, 0x20000                                     // 000000002BE4: BEAB00FF 00020000
	s_and_b32 s41, s41, 0xffff                                 // 000000002BEC: 8629FF29 0000FFFF
	s_or_b32 s41, s41, 0x40000                                 // 000000002BF4: 8729FF29 00040000
	v_accvgpr_write_b32 a111, 0                                // 000000002BFC: D3D9406F 18000080
	v_mov_b32_e32 v72, 0                                       // 000000002C04: 7E900280
	s_waitcnt lgkmcnt(0)                                       // 000000002C08: BF8CC07F
	s_mul_i32 s60, s3, 16                                      // 000000002C0C: 923C9003
	s_cmp_lt_i32 s60, s48                                      // 000000002C10: BF04303C
	s_cbranch_scc0 label_0FE0                                  // 000000002C14: BF840F57
	s_mov_b32 s80, 0                                           // 000000002C18: BED00080
	s_lshr_b32 s81, s64, s88                                   // 000000002C1C: 8F515840
	s_mul_i32 s60, s3, 4                                       // 000000002C20: 923C8403
	s_add_u32 s44, s60, s44                                    // 000000002C24: 802C2C3C
	s_addc_u32 s45, 0, s45                                     // 000000002C28: 822D2D80
	s_load_dword s5, s[44:45], 0x0                             // 000000002C2C: C0020156 00000000
	s_mul_i32 s60, s3, 16                                      // 000000002C34: 923C9003
	s_mul_i32 s60, 4, s60                                      // 000000002C38: 923C3C84
	s_add_u32 s12, s60, s12                                    // 000000002C3C: 800C0C3C
	s_addc_u32 s13, 0, s13                                     // 000000002C40: 820D0D80
	v_and_b32_e32 v4, 15, v0                                   // 000000002C44: 2608008F
	v_lshlrev_b32_e32 v4, 2, v4                                // 000000002C48: 24080882
	buffer_load_dword v30, v4, s[12:15], 0 offen               // 000000002C4C: E0501000 80031E04
	v_add_u32_e32 v4, 64, v4                                   // 000000002C54: 680808C0
	s_mul_i32 s60, 4, s7                                       // 000000002C58: 923C0784
	v_lshlrev_b32_e32 v4, 4, v0                                // 000000002C5C: 24080084
	v_add_u32_e32 v4, s60, v4                                  // 000000002C60: 6808083C
	buffer_load_dword v3, v4, s[12:15], 0 offen                // 000000002C64: E0501000 80030304
	v_mov_b32_e32 v40, 0                                       // 000000002C6C: 7E500280
	v_mov_b32_e32 v56, 0                                       // 000000002C70: 7E700280
	v_mov_b32_e32 v41, 0                                       // 000000002C74: 7E520280
	v_mov_b32_e32 v57, 0                                       // 000000002C78: 7E720280
	v_mov_b32_e32 v42, 0                                       // 000000002C7C: 7E540280
	v_mov_b32_e32 v58, 0                                       // 000000002C80: 7E740280
	v_mov_b32_e32 v43, 0                                       // 000000002C84: 7E560280
	v_mov_b32_e32 v59, 0                                       // 000000002C88: 7E760280
	v_mov_b32_e32 v44, 0                                       // 000000002C8C: 7E580280
	v_mov_b32_e32 v60, 0                                       // 000000002C90: 7E780280
	v_mov_b32_e32 v45, 0                                       // 000000002C94: 7E5A0280
	v_mov_b32_e32 v61, 0                                       // 000000002C98: 7E7A0280
	v_mov_b32_e32 v46, 0                                       // 000000002C9C: 7E5C0280
	v_mov_b32_e32 v62, 0                                       // 000000002CA0: 7E7C0280
	v_mov_b32_e32 v47, 0                                       // 000000002CA4: 7E5E0280
	v_mov_b32_e32 v63, 0                                       // 000000002CA8: 7E7E0280
	v_mov_b32_e32 v48, 0                                       // 000000002CAC: 7E600280
	v_mov_b32_e32 v64, 0                                       // 000000002CB0: 7E800280
	v_mov_b32_e32 v49, 0                                       // 000000002CB4: 7E620280
	v_mov_b32_e32 v65, 0                                       // 000000002CB8: 7E820280
	v_mov_b32_e32 v50, 0                                       // 000000002CBC: 7E640280
	v_mov_b32_e32 v66, 0                                       // 000000002CC0: 7E840280
	v_mov_b32_e32 v51, 0                                       // 000000002CC4: 7E660280
	v_mov_b32_e32 v67, 0                                       // 000000002CC8: 7E860280
	v_mov_b32_e32 v52, 0                                       // 000000002CCC: 7E680280
	v_mov_b32_e32 v68, 0                                       // 000000002CD0: 7E880280
	v_mov_b32_e32 v53, 0                                       // 000000002CD4: 7E6A0280
	v_mov_b32_e32 v69, 0                                       // 000000002CD8: 7E8A0280
	v_mov_b32_e32 v54, 0                                       // 000000002CDC: 7E6C0280
	v_mov_b32_e32 v70, 0                                       // 000000002CE0: 7E8C0280
	v_mov_b32_e32 v55, 0                                       // 000000002CE4: 7E6E0280
	v_mov_b32_e32 v71, 0                                       // 000000002CE8: 7E8E0280
	s_mul_i32 s60, s2, 0x200                                   // 000000002CEC: 923CFF02 00000200
	s_cmp_eq_u32 s88, 0                                        // 000000002CF4: BF068058
	s_cselect_b32 s61, 1, 2                                    // 000000002CF8: 853D8281
	s_mul_i32 s60, s60, s61                                    // 000000002CFC: 923C3D3C
	s_mov_b32 s90, s8                                          // 000000002D00: BEDA0008
	s_mov_b32 s91, s9                                          // 000000002D04: BEDB0009
	s_add_u32 s8, s60, s8                                      // 000000002D08: 8008083C
	s_addc_u32 s9, 0, s9                                       // 000000002D0C: 82090980
	v_lshrrev_b32_e32 v4, 4, v0                                // 000000002D10: 20080084
	v_mul_lo_u32 v20, 34, v4                                   // 000000002D14: D2850014 000208A2
	v_and_b32_e32 v4, 15, v0                                   // 000000002D1C: 2608008F
	v_mul_lo_u32 v5, 2, v4                                     // 000000002D20: D2850005 00020882
	v_add_u32_e32 v20, v5, v20                                 // 000000002D28: 68282905
	s_mul_i32 s60, s7, 0x88                                    // 000000002D2C: 923CFF07 00000088
	v_add_u32_e32 v20, s60, v20                                // 000000002D34: 6828283C
	v_lshlrev_b32_e32 v20, 2, v20                              // 000000002D38: 24282882
	v_and_b32_e32 v4, 31, v0                                   // 000000002D3C: 2608009F
	v_lshrrev_b32_e32 v4, 1, v4                                // 000000002D40: 20080881
	v_mul_lo_u32 v21, 34, v4                                   // 000000002D44: D2850015 000208A2
	v_lshrrev_b32_e32 v4, 5, v0                                // 000000002D4C: 20080085
	v_mul_lo_u32 v4, 8, v4                                     // 000000002D50: D2850004 00020888
	v_add_u32_e32 v21, v21, v4                                 // 000000002D58: 682A0915
	v_and_b32_e32 v5, 1, v0                                    // 000000002D5C: 260A0081
	v_add_u32_e32 v21, v5, v21                                 // 000000002D60: 682A2B05
	s_mul_i32 s60, s7, 2                                       // 000000002D64: 923C8207
	v_add_u32_e32 v21, s60, v21                                // 000000002D68: 682A2A3C
	v_lshlrev_b32_e32 v21, 2, v21                              // 000000002D6C: 242A2A82
	s_mul_i32 s60, s7, 0x220                                   // 000000002D70: 923CFF07 00000220
	s_add_u32 s48, 0, s60                                      // 000000002D78: 80303C80
	s_add_u32 s49, 0x880, s48                                  // 000000002D7C: 803130FF 00000880
	s_add_u32 s50, 0x880, s49                                  // 000000002D84: 803231FF 00000880
	v_lshrrev_b32_e32 v4, 4, v0                                // 000000002D8C: 20080084
	v_lshlrev_b32_e32 v5, 2, v4                                // 000000002D90: 240A0882
	v_and_b32_e32 v4, 15, v0                                   // 000000002D94: 2608008F
	v_lshrrev_b32_e32 v6, 2, v4                                // 000000002D98: 200C0882
	v_lshlrev_b32_e32 v6, 5, v6                                // 000000002D9C: 240C0C85
	v_add_u32_e32 v5, v6, v5                                   // 000000002DA0: 680A0B06
	v_and_b32_e32 v4, 3, v0                                    // 000000002DA4: 26080083
	v_mul_u32_u24_e32 v6, 0x88, v4                             // 000000002DA8: 100C08FF 00000088
	v_add_u32_e32 v5, v6, v5                                   // 000000002DB0: 680A0B06
	v_lshlrev_b32_e32 v2, 2, v5                                // 000000002DB4: 24040A82
	s_waitcnt lgkmcnt(0)                                       // 000000002DB8: BF8CC07F
	s_mul_i32 s60, s2, 0x100                                   // 000000002DBC: 923CFF02 00000100
	s_mul_i32 s60, s60, s69                                    // 000000002DC4: 923C453C
	s_mul_i32 s61, s5, s72                                     // 000000002DC8: 923D4805
	s_add_u32 s60, s61, s60                                    // 000000002DCC: 803C3C3D
	s_add_u32 s24, s60, s24                                    // 000000002DD0: 8018183C
	s_addc_u32 s25, 0, s25                                     // 000000002DD4: 82191980
	s_lshr_b32 s60, s64, s88                                   // 000000002DD8: 8F3C5840
	s_mul_i32 s60, s4, s60                                     // 000000002DDC: 923C3C04
	s_lshr_b32 s60, s60, 7                                     // 000000002DE0: 8F3C873C
	s_mul_i32 s60, s60, 0x800                                  // 000000002DE4: 923CFF3C 00000800
	s_add_u32 s24, s60, s24                                    // 000000002DEC: 8018183C
	s_addc_u32 s25, 0, s25                                     // 000000002DF0: 82191980
	s_lshr_b32 s60, s69, s88                                   // 000000002DF4: 8F3C5845
	s_mul_i32 s60, s4, s60                                     // 000000002DF8: 923C3C04
	s_add_u32 s20, s60, s20                                    // 000000002DFC: 8014143C
	s_addc_u32 s21, 0, s21                                     // 000000002E00: 82151580
	s_mul_i32 s60, s7, 16                                      // 000000002E04: 923C9007
	s_mul_i32 s60, s60, s69                                    // 000000002E08: 923C453C
	v_lshlrev_b32_e32 v36, 4, v0                               // 000000002E0C: 24480084
	v_add_u32_e32 v36, s60, v36                                // 000000002E10: 6848483C
	s_mul_i32 s60, 64, s69                                     // 000000002E14: 923C45C0
	v_add_u32_e32 v37, s60, v36                                // 000000002E18: 684A483C
	v_add_u32_e32 v38, s60, v37                                // 000000002E1C: 684C4A3C
	v_add_u32_e32 v39, s60, v38                                // 000000002E20: 684E4C3C
	s_mov_b32 s84, s24                                         // 000000002E24: BED40018
	s_mov_b32 s85, s25                                         // 000000002E28: BED50019
	s_mov_b32 s86, s26                                         // 000000002E2C: BED6001A
	s_mov_b32 s87, s27                                         // 000000002E30: BED7001B
	s_mul_i32 s60, s69, s65                                    // 000000002E34: 923C4145
	s_add_u32 s84, s60, s84                                    // 000000002E38: 8054543C
	s_addc_u32 s85, 0, s85                                     // 000000002E3C: 82555580
	v_lshrrev_b32_e32 v4, 4, v0                                // 000000002E40: 20080084
	v_lshlrev_b32_e32 v5, 2, v4                                // 000000002E44: 240A0882
	v_and_b32_e32 v4, 15, v0                                   // 000000002E48: 2608008F
	v_lshrrev_b32_e32 v6, 2, v4                                // 000000002E4C: 200C0882
	v_lshlrev_b32_e32 v6, 6, v6                                // 000000002E50: 240C0C86
	v_add_u32_e32 v5, v6, v5                                   // 000000002E54: 680A0B06
	v_and_b32_e32 v4, 3, v0                                    // 000000002E58: 26080083
	v_add_u32_e32 v5, v4, v5                                   // 000000002E5C: 680A0B04
	v_lshlrev_b32_e32 v22, 2, v5                               // 000000002E60: 242C0A82
	s_mul_i32 s60, s7, 16                                      // 000000002E64: 923C9007
	s_mul_i32 s60, s60, 4                                      // 000000002E68: 923C843C
	v_add_u32_e32 v22, s60, v22                                // 000000002E6C: 682C2C3C
	s_mul_i32 s60, s2, 0x100                                   // 000000002E70: 923CFF02 00000100
	s_mul_i32 s60, s60, 4                                      // 000000002E78: 923C843C
	s_mul_i32 s61, s5, s74                                     // 000000002E7C: 923D4A05
	s_add_u32 s61, s61, s60                                    // 000000002E80: 803D3C3D
	s_add_u32 s32, s61, s32                                    // 000000002E84: 8020203D
	s_addc_u32 s33, 0, s33                                     // 000000002E88: 82212180
	s_mov_b32 s57, 0x80                                        // 000000002E8C: BEB900FF 00000080
	s_mov_b32 s58, 0x800                                       // 000000002E94: BEBA00FF 00000800
	s_mov_b32 s83, s58                                         // 000000002E9C: BED3003A
	s_mov_b32 s52, 0x7060302                                   // 000000002EA0: BEB400FF 07060302
	s_mov_b32 s53, 0x400                                       // 000000002EA8: BEB500FF 00000400
	s_mov_b32 s54, 0x40100                                     // 000000002EB0: BEB600FF 00040100
	s_mov_b32 s55, 0x4020100                                   // 000000002EB8: BEB700FF 04020100
	s_mov_b32 s6, 0x3fb8aa3b                                   // 000000002EC0: BE8600FF 3FB8AA3B
	s_mov_b32 s78, 0xbd92220c                                  // 000000002EC8: BECE00FF BD92220C
	s_mov_b32 s79, 0xbd92220c                                  // 000000002ED0: BECF00FF BD92220C
	s_mov_b32 m0, s48                                          // 000000002ED8: BEFC0030
	v_mov_b32_e32 v1, 0xbfcc4231                               // 000000002EDC: 7E0202FF BFCC4231
	v_mov_b32_e32 v17, 0xffff0000                              // 000000002EE4: 7E2202FF FFFF0000
	v_mov_b32_e32 v18, 0x7fff0000                              // 000000002EEC: 7E2402FF 7FFF0000
	v_mov_b32_e32 v19, 0x7fff                                  // 000000002EF4: 7E2602FF 00007FFF
	s_waitcnt vmcnt(0) expcnt(0) lgkmcnt(0)                    // 000000002EFC: BF8C0000
	s_mul_i32 s60, s3, 16                                      // 000000002F00: 923C9003
	s_mul_i32 s60, 4, s60                                      // 000000002F04: 923C3C84
	s_add_u32 s40, s60, s40                                    // 000000002F08: 8028283C
	s_addc_u32 s41, 0, s41                                     // 000000002F0C: 82292980
	v_and_b32_e32 v4, 15, v0                                   // 000000002F10: 2608008F
	v_lshlrev_b32_e32 v4, 2, v4                                // 000000002F14: 24080882
	buffer_load_dword v72, v4, s[40:43], 0 offen               // 000000002F18: E0501000 800A4804
	v_lshrrev_b32_e32 v4, 5, v0                                // 000000002F20: 20080085
	v_xor_b32_e32 v5, 1, v4                                    // 000000002F24: 2A0A0881
	v_readlane_b32 s82, v3, 0                                  // 000000002F28: D2890052 00010103
	s_and_b32 s82, s82, 0xffffff                               // 000000002F30: 8652FF52 00FFFFFF
	v_mul_lo_u32 v6, v5, s82                                   // 000000002F38: D2850006 0000A505
	v_readlane_b32 s82, v3, 1                                  // 000000002F40: D2890052 00010303
	s_and_b32 s82, s82, 0xffffff                               // 000000002F48: 8652FF52 00FFFFFF
	v_mul_lo_u32 v7, v4, s82                                   // 000000002F50: D2850007 0000A504
	v_add_u32_e32 v34, v6, v7                                  // 000000002F58: 68440F06
	v_mul_lo_u32 v34, v34, s68                                 // 000000002F5C: D2850022 00008922
	v_readlane_b32 s82, v3, 2                                  // 000000002F64: D2890052 00010503
	s_and_b32 s82, s82, 0xffffff                               // 000000002F6C: 8652FF52 00FFFFFF
	v_mul_lo_u32 v6, v5, s82                                   // 000000002F74: D2850006 0000A505
	v_readlane_b32 s82, v3, 3                                  // 000000002F7C: D2890052 00010703
	s_and_b32 s82, s82, 0xffffff                               // 000000002F84: 8652FF52 00FFFFFF
	v_mul_lo_u32 v7, v4, s82                                   // 000000002F8C: D2850007 0000A504
	v_add_u32_e32 v35, v6, v7                                  // 000000002F94: 68460F06
	v_mul_lo_u32 v35, v35, s68                                 // 000000002F98: D2850023 00008923
	v_and_b32_e32 v4, 31, v0                                   // 000000002FA0: 2608009F
	v_lshlrev_b32_e32 v4, 2, v4                                // 000000002FA4: 24080882
	v_add_u32_e32 v34, v34, v4                                 // 000000002FA8: 68440922
	v_add_u32_e32 v35, v35, v4                                 // 000000002FAC: 68460923
	v_and_b32_e32 v30, 0xffffff, v30                           // 000000002FB0: 263C3CFF 00FFFFFF
	v_lshlrev_b32_e32 v30, 2, v30                              // 000000002FB8: 243C3C82
	s_lshl_b32 s3, s66, 2                                      // 000000002FBC: 8E038242
	buffer_load_dword v31, v30, s[28:31], 0 offen              // 000000002FC0: E0501000 80071F1E
	buffer_load_dword v24, v22, s[32:35], 0 offen              // 000000002FC8: E0501000 80081816
	s_mul_i32 s60, 4, s65                                      // 000000002FD0: 923C4184
	s_add_u32 s32, s60, s32                                    // 000000002FD4: 8020203C
	s_addc_u32 s33, 0, s33                                     // 000000002FD8: 82212180
	buffer_load_dword v27, v22, s[32:35], 0 offen              // 000000002FDC: E0501000 80081B16
	buffer_load_dword v34, s[20:23], 0 offen lds               // 000000002FE4: E0511000 80050022
	s_add_u32 m0, 0x100, s48                                   // 000000002FEC: 807C30FF 00000100
	buffer_load_dword v35, s[20:23], 0 offen lds               // 000000002FF4: E0511000 80050023
	s_add_u32 m0, 0, s49                                       // 000000002FFC: 807C3180
	s_add_u32 s20, s57, s20                                    // 000000003000: 80141439
	s_addc_u32 s21, 0, s21                                     // 000000003004: 82151580
	buffer_load_dwordx4 a[16:19], v36, s[24:27], 0 offen       // 000000003008: E05C1000 80861024
	buffer_load_dwordx4 a[20:23], v36, s[24:27], 0 offen offset:1024// 000000003010: E05C1400 80861424
	buffer_load_dwordx4 a[24:27], v37, s[24:27], 0 offen       // 000000003018: E05C1000 80861825
	buffer_load_dwordx4 a[28:31], v37, s[24:27], 0 offen offset:1024// 000000003020: E05C1400 80861C25
	buffer_load_dwordx4 a[32:35], v38, s[24:27], 0 offen       // 000000003028: E05C1000 80862026
	buffer_load_dwordx4 a[36:39], v38, s[24:27], 0 offen offset:1024// 000000003030: E05C1400 80862426
	buffer_load_dwordx4 a[40:43], v39, s[24:27], 0 offen       // 000000003038: E05C1000 80862827
	buffer_load_dwordx4 a[44:47], v39, s[24:27], 0 offen offset:1024// 000000003040: E05C1400 80862C27
	s_add_u32 s24, s58, s24                                    // 000000003048: 8018183A
	s_addc_u32 s25, 0, s25                                     // 00000000304C: 82191980
	buffer_load_dword v34, s[20:23], 0 offen lds               // 000000003050: E0511000 80050022
	s_add_u32 m0, 0x100, s49                                   // 000000003058: 807C31FF 00000100
	buffer_load_dword v35, s[20:23], 0 offen lds               // 000000003060: E0511000 80050023
	s_add_u32 m0, 0, s50                                       // 000000003068: 807C3280
	s_add_u32 s20, s57, s20                                    // 00000000306C: 80141439
	s_addc_u32 s21, 0, s21                                     // 000000003070: 82151580
	buffer_load_dwordx4 a[48:51], v36, s[84:87], 0 offen       // 000000003074: E05C1000 80953024
	buffer_load_dwordx4 a[52:55], v36, s[84:87], 0 offen offset:1024// 00000000307C: E05C1400 80953424
	buffer_load_dwordx4 a[56:59], v37, s[84:87], 0 offen       // 000000003084: E05C1000 80953825
	buffer_load_dwordx4 a[60:63], v37, s[84:87], 0 offen offset:1024// 00000000308C: E05C1400 80953C25
	buffer_load_dwordx4 a[64:67], v38, s[84:87], 0 offen       // 000000003094: E05C1000 80954026
	buffer_load_dwordx4 a[68:71], v38, s[84:87], 0 offen offset:1024// 00000000309C: E05C1400 80954426
	buffer_load_dwordx4 a[72:75], v39, s[84:87], 0 offen       // 0000000030A4: E05C1000 80954827
	buffer_load_dwordx4 a[76:79], v39, s[84:87], 0 offen offset:1024// 0000000030AC: E05C1400 80954C27
	s_add_u32 s84, s83, s84                                    // 0000000030B4: 80545453
	s_addc_u32 s85, 0, s85                                     // 0000000030B8: 82555580
	s_waitcnt vmcnt(18)                                        // 0000000030BC: BF8C4F72
	s_barrier                                                  // 0000000030C0: BF8A0000
	ds_read_b128 a[0:3], v2                                    // 0000000030C4: DBFE0000 00000002
	ds_read_b128 a[4:7], v2 offset:64                          // 0000000030CC: DBFE0040 04000002
	s_cmp_lt_i32 s7, 2                                         // 0000000030D4: BF048207
	s_cbranch_scc0 label_08CD                                  // 0000000030D8: BF840713

00000000000030dc <label_01B7>:
	s_waitcnt vmcnt(10) lgkmcnt(0)                             // 0000000030DC: BF8C007A
	v_mfma_f32_16x16x32_fp8_fp8 v[40:43], a[16:17], a[0:1], v[40:43]// 0000000030E0: D3F30028 1CA20110
	v_mfma_f32_16x16x32_fp8_fp8 v[40:43], a[18:19], a[2:3], v[40:43]// 0000000030E8: D3F30028 1CA20512
	buffer_load_dwordx4 a[80:83], v36, s[24:27], 0 offen       // 0000000030F0: E05C1000 80865024
	v_mfma_f32_16x16x32_fp8_fp8 v[40:43], a[20:21], a[4:5], v[40:43]// 0000000030F8: D3F30028 1CA20914
	v_mfma_f32_16x16x32_fp8_fp8 v[40:43], a[22:23], a[6:7], v[40:43]// 000000003100: D3F30028 1CA20D16
	v_mfma_f32_16x16x32_fp8_fp8 v[44:47], a[24:25], a[0:1], v[44:47]// 000000003108: D3F3002C 1CB20118
	v_mfma_f32_16x16x32_fp8_fp8 v[44:47], a[26:27], a[2:3], v[44:47]// 000000003110: D3F3002C 1CB2051A
	buffer_load_dwordx4 a[84:87], v36, s[24:27], 0 offen offset:1024// 000000003118: E05C1400 80865424
	v_mfma_f32_16x16x32_fp8_fp8 v[44:47], a[28:29], a[4:5], v[44:47]// 000000003120: D3F3002C 1CB2091C
	v_mfma_f32_16x16x32_fp8_fp8 v[44:47], a[30:31], a[6:7], v[44:47]// 000000003128: D3F3002C 1CB20D1E
	v_mfma_f32_16x16x32_fp8_fp8 v[48:51], a[32:33], a[0:1], v[48:51]// 000000003130: D3F30030 1CC20120
	v_mfma_f32_16x16x32_fp8_fp8 v[48:51], a[34:35], a[2:3], v[48:51]// 000000003138: D3F30030 1CC20522
	buffer_load_dwordx4 a[88:91], v37, s[24:27], 0 offen       // 000000003140: E05C1000 80865825
	v_mfma_f32_16x16x32_fp8_fp8 v[48:51], a[36:37], a[4:5], v[48:51]// 000000003148: D3F30030 1CC20924
	v_mfma_f32_16x16x32_fp8_fp8 v[48:51], a[38:39], a[6:7], v[48:51]// 000000003150: D3F30030 1CC20D26
	v_mfma_f32_16x16x32_fp8_fp8 v[52:55], a[40:41], a[0:1], v[52:55]// 000000003158: D3F30034 1CD20128
	v_mfma_f32_16x16x32_fp8_fp8 v[52:55], a[42:43], a[2:3], v[52:55]// 000000003160: D3F30034 1CD2052A
	buffer_load_dwordx4 a[92:95], v37, s[24:27], 0 offen offset:1024// 000000003168: E05C1400 80865C25
	v_mfma_f32_16x16x32_fp8_fp8 v[52:55], a[44:45], a[4:5], v[52:55]// 000000003170: D3F30034 1CD2092C
	v_mfma_f32_16x16x32_fp8_fp8 v[52:55], a[46:47], a[6:7], v[52:55]// 000000003178: D3F30034 1CD20D2E
	buffer_load_dwordx4 a[96:99], v38, s[24:27], 0 offen       // 000000003180: E05C1000 80866026
	buffer_load_dwordx4 a[100:103], v38, s[24:27], 0 offen offset:1024// 000000003188: E05C1400 80866426
	buffer_load_dwordx4 a[104:107], v39, s[24:27], 0 offen     // 000000003190: E05C1000 80866827
	buffer_load_dwordx4 a[108:111], v39, s[24:27], 0 offen offset:1024// 000000003198: E05C1400 80866C27
	buffer_load_dword v34, s[20:23], 0 offen lds               // 0000000031A0: E0511000 80050022
	s_add_u32 m0, 0x100, s50                                   // 0000000031A8: 807C32FF 00000100
	buffer_load_dword v35, s[20:23], 0 offen lds               // 0000000031B0: E0511000 80050023
	s_add_u32 m0, 0, s48                                       // 0000000031B8: 807C3080
	s_waitcnt vmcnt(10)                                        // 0000000031BC: BF8C0F7A
	s_barrier                                                  // 0000000031C0: BF8A0000
	v_mfma_f32_16x16x32_fp8_fp8 v[56:59], a[48:49], a[0:1], v[56:59]// 0000000031C4: D3F30038 1CE20130
	v_mfma_f32_16x16x32_fp8_fp8 v[56:59], a[50:51], a[2:3], v[56:59]// 0000000031CC: D3F30038 1CE20532
	buffer_load_dwordx4 a[16:19], v36, s[84:87], 0 offen       // 0000000031D4: E05C1000 80951024
	v_mfma_f32_16x16x32_fp8_fp8 v[56:59], a[52:53], a[4:5], v[56:59]// 0000000031DC: D3F30038 1CE20934
	v_mfma_f32_16x16x32_fp8_fp8 v[56:59], a[54:55], a[6:7], v[56:59]// 0000000031E4: D3F30038 1CE20D36
	ds_read_b128 a[8:11], v2 offset:2176                       // 0000000031EC: DBFE0880 08000002
	ds_read_b128 a[12:15], v2 offset:2240                      // 0000000031F4: DBFE08C0 0C000002
	v_mfma_f32_16x16x32_fp8_fp8 v[60:63], a[56:57], a[0:1], v[60:63]// 0000000031FC: D3F3003C 1CF20138
	v_mfma_f32_16x16x32_fp8_fp8 v[60:63], a[58:59], a[2:3], v[60:63]// 000000003204: D3F3003C 1CF2053A
	buffer_load_dwordx4 a[20:23], v36, s[84:87], 0 offen offset:1024// 00000000320C: E05C1400 80951424
	v_mfma_f32_16x16x32_fp8_fp8 v[60:63], a[60:61], a[4:5], v[60:63]// 000000003214: D3F3003C 1CF2093C
	v_mfma_f32_16x16x32_fp8_fp8 v[60:63], a[62:63], a[6:7], v[60:63]// 00000000321C: D3F3003C 1CF20D3E
	v_mfma_f32_16x16x32_fp8_fp8 v[64:67], a[64:65], a[0:1], v[64:67]// 000000003224: D3F30040 1D020140
	s_add_u32 s60, 0x180, s80                                  // 00000000322C: 803C50FF 00000180
	s_cmp_lt_u32 s60, s81                                      // 000000003234: BF0A513C
	s_cselect_b32 s57, s57, 0                                  // 000000003238: 85398039
	v_mfma_f32_16x16x32_fp8_fp8 v[64:67], a[66:67], a[2:3], v[64:67]// 00000000323C: D3F30040 1D020542
	buffer_load_dwordx4 a[24:27], v37, s[84:87], 0 offen       // 000000003244: E05C1000 80951825
	s_add_u32 s60, 0x100, s80                                  // 00000000324C: 803C50FF 00000100
	s_cmp_lt_u32 s60, s81                                      // 000000003254: BF0A513C
	s_cselect_b32 s58, s58, 0                                  // 000000003258: 853A803A
	v_mfma_f32_16x16x32_fp8_fp8 v[64:67], a[68:69], a[4:5], v[64:67]// 00000000325C: D3F30040 1D020944
	s_add_u32 s60, 0x100, s80                                  // 000000003264: 803C50FF 00000100
	s_cmp_lt_u32 s60, s81                                      // 00000000326C: BF0A513C
	s_cselect_b32 s83, s83, 0                                  // 000000003270: 85538053
	v_mfma_f32_16x16x32_fp8_fp8 v[64:67], a[70:71], a[6:7], v[64:67]// 000000003274: D3F30040 1D020D46
	s_add_u32 s24, s58, s24                                    // 00000000327C: 8018183A
	s_addc_u32 s25, 0, s25                                     // 000000003280: 82191980
	v_mfma_f32_16x16x32_fp8_fp8 v[68:71], a[72:73], a[0:1], v[68:71]// 000000003284: D3F30044 1D120148
	s_add_u32 s20, s57, s20                                    // 00000000328C: 80141439
	s_addc_u32 s21, 0, s21                                     // 000000003290: 82151580
	v_mfma_f32_16x16x32_fp8_fp8 v[68:71], a[74:75], a[2:3], v[68:71]// 000000003294: D3F30044 1D12054A
	buffer_load_dwordx4 a[28:31], v37, s[84:87], 0 offen offset:1024// 00000000329C: E05C1400 80951C25
	v_mfma_f32_16x16x32_fp8_fp8 v[68:71], a[76:77], a[4:5], v[68:71]// 0000000032A4: D3F30044 1D12094C
	v_mfma_f32_16x16x32_fp8_fp8 v[68:71], a[78:79], a[6:7], v[68:71]// 0000000032AC: D3F30044 1D120D4E
	buffer_load_dwordx4 a[32:35], v38, s[84:87], 0 offen       // 0000000032B4: E05C1000 80952026
	buffer_load_dwordx4 a[36:39], v38, s[84:87], 0 offen offset:1024// 0000000032BC: E05C1400 80952426
	buffer_load_dwordx4 a[40:43], v39, s[84:87], 0 offen       // 0000000032C4: E05C1000 80952827
	buffer_load_dwordx4 a[44:47], v39, s[84:87], 0 offen offset:1024// 0000000032CC: E05C1400 80952C27
	s_add_u32 s84, s83, s84                                    // 0000000032D4: 80545453
	s_addc_u32 s85, 0, s85                                     // 0000000032D8: 82555580
	s_addk_i32 s80, 0x80                                       // 0000000032DC: B7500080
	s_cmp_lt_i32 s80, s81                                      // 0000000032E0: BF045150
	s_cbranch_scc0 label_04CA                                  // 0000000032E4: BF840290
	s_waitcnt vmcnt(10) lgkmcnt(0)                             // 0000000032E8: BF8C007A
	v_mfma_f32_16x16x32_fp8_fp8 v[40:43], a[80:81], a[8:9], v[40:43]// 0000000032EC: D3F30028 1CA21150
	v_mfma_f32_16x16x32_fp8_fp8 v[40:43], a[82:83], a[10:11], v[40:43]// 0000000032F4: D3F30028 1CA21552
	buffer_load_dwordx4 a[48:51], v36, s[24:27], 0 offen       // 0000000032FC: E05C1000 80863024
	v_mfma_f32_16x16x32_fp8_fp8 v[40:43], a[84:85], a[12:13], v[40:43]// 000000003304: D3F30028 1CA21954
	v_mfma_f32_16x16x32_fp8_fp8 v[40:43], a[86:87], a[14:15], v[40:43]// 00000000330C: D3F30028 1CA21D56
	v_mfma_f32_16x16x32_fp8_fp8 v[44:47], a[88:89], a[8:9], v[44:47]// 000000003314: D3F3002C 1CB21158
	v_mfma_f32_16x16x32_fp8_fp8 v[44:47], a[90:91], a[10:11], v[44:47]// 00000000331C: D3F3002C 1CB2155A
	buffer_load_dwordx4 a[52:55], v36, s[24:27], 0 offen offset:1024// 000000003324: E05C1400 80863424
	v_mfma_f32_16x16x32_fp8_fp8 v[44:47], a[92:93], a[12:13], v[44:47]// 00000000332C: D3F3002C 1CB2195C
	v_mfma_f32_16x16x32_fp8_fp8 v[44:47], a[94:95], a[14:15], v[44:47]// 000000003334: D3F3002C 1CB21D5E
	v_mfma_f32_16x16x32_fp8_fp8 v[48:51], a[96:97], a[8:9], v[48:51]// 00000000333C: D3F30030 1CC21160
	v_mfma_f32_16x16x32_fp8_fp8 v[48:51], a[98:99], a[10:11], v[48:51]// 000000003344: D3F30030 1CC21562
	buffer_load_dwordx4 a[56:59], v37, s[24:27], 0 offen       // 00000000334C: E05C1000 80863825
	v_mfma_f32_16x16x32_fp8_fp8 v[48:51], a[100:101], a[12:13], v[48:51]// 000000003354: D3F30030 1CC21964
	v_mfma_f32_16x16x32_fp8_fp8 v[48:51], a[102:103], a[14:15], v[48:51]// 00000000335C: D3F30030 1CC21D66
	v_mfma_f32_16x16x32_fp8_fp8 v[52:55], a[104:105], a[8:9], v[52:55]// 000000003364: D3F30034 1CD21168
	v_mfma_f32_16x16x32_fp8_fp8 v[52:55], a[106:107], a[10:11], v[52:55]// 00000000336C: D3F30034 1CD2156A
	buffer_load_dwordx4 a[60:63], v37, s[24:27], 0 offen offset:1024// 000000003374: E05C1400 80863C25
	v_mfma_f32_16x16x32_fp8_fp8 v[52:55], a[108:109], a[12:13], v[52:55]// 00000000337C: D3F30034 1CD2196C
	v_mfma_f32_16x16x32_fp8_fp8 v[52:55], a[110:111], a[14:15], v[52:55]// 000000003384: D3F30034 1CD21D6E
	buffer_load_dwordx4 a[64:67], v38, s[24:27], 0 offen       // 00000000338C: E05C1000 80864026
	buffer_load_dwordx4 a[68:71], v38, s[24:27], 0 offen offset:1024// 000000003394: E05C1400 80864426
	buffer_load_dwordx4 a[72:75], v39, s[24:27], 0 offen       // 00000000339C: E05C1000 80864827
	buffer_load_dwordx4 a[76:79], v39, s[24:27], 0 offen offset:1024// 0000000033A4: E05C1400 80864C27
	buffer_load_dword v34, s[20:23], 0 offen lds               // 0000000033AC: E0511000 80050022
	s_add_u32 m0, 0x100, s48                                   // 0000000033B4: 807C30FF 00000100
	buffer_load_dword v35, s[20:23], 0 offen lds               // 0000000033BC: E0511000 80050023
	s_add_u32 m0, 0, s49                                       // 0000000033C4: 807C3180
	s_waitcnt vmcnt(10)                                        // 0000000033C8: BF8C0F7A
	s_barrier                                                  // 0000000033CC: BF8A0000
	v_mfma_f32_16x16x32_fp8_fp8 v[56:59], a[16:17], a[8:9], v[56:59]// 0000000033D0: D3F30038 1CE21110
	v_mfma_f32_16x16x32_fp8_fp8 v[56:59], a[18:19], a[10:11], v[56:59]// 0000000033D8: D3F30038 1CE21512
	buffer_load_dwordx4 a[80:83], v36, s[84:87], 0 offen       // 0000000033E0: E05C1000 80955024
	v_mfma_f32_16x16x32_fp8_fp8 v[56:59], a[20:21], a[12:13], v[56:59]// 0000000033E8: D3F30038 1CE21914
	v_mfma_f32_16x16x32_fp8_fp8 v[56:59], a[22:23], a[14:15], v[56:59]// 0000000033F0: D3F30038 1CE21D16
	ds_read_b128 a[0:3], v2 offset:4352                        // 0000000033F8: DBFE1100 00000002
	ds_read_b128 a[4:7], v2 offset:4416                        // 000000003400: DBFE1140 04000002
	v_mfma_f32_16x16x32_fp8_fp8 v[60:63], a[24:25], a[8:9], v[60:63]// 000000003408: D3F3003C 1CF21118
	v_mfma_f32_16x16x32_fp8_fp8 v[60:63], a[26:27], a[10:11], v[60:63]// 000000003410: D3F3003C 1CF2151A
	buffer_load_dwordx4 a[84:87], v36, s[84:87], 0 offen offset:1024// 000000003418: E05C1400 80955424
	v_mfma_f32_16x16x32_fp8_fp8 v[60:63], a[28:29], a[12:13], v[60:63]// 000000003420: D3F3003C 1CF2191C
	v_mfma_f32_16x16x32_fp8_fp8 v[60:63], a[30:31], a[14:15], v[60:63]// 000000003428: D3F3003C 1CF21D1E
	v_mfma_f32_16x16x32_fp8_fp8 v[64:67], a[32:33], a[8:9], v[64:67]// 000000003430: D3F30040 1D021120
	s_add_u32 s60, 0x180, s80                                  // 000000003438: 803C50FF 00000180
	s_cmp_lt_u32 s60, s81                                      // 000000003440: BF0A513C
	s_cselect_b32 s57, s57, 0                                  // 000000003444: 85398039
	v_mfma_f32_16x16x32_fp8_fp8 v[64:67], a[34:35], a[10:11], v[64:67]// 000000003448: D3F30040 1D021522
	buffer_load_dwordx4 a[88:91], v37, s[84:87], 0 offen       // 000000003450: E05C1000 80955825
	s_add_u32 s60, 0x100, s80                                  // 000000003458: 803C50FF 00000100
	s_cmp_lt_u32 s60, s81                                      // 000000003460: BF0A513C
	s_cselect_b32 s58, s58, 0                                  // 000000003464: 853A803A
	v_mfma_f32_16x16x32_fp8_fp8 v[64:67], a[36:37], a[12:13], v[64:67]// 000000003468: D3F30040 1D021924
	s_add_u32 s60, 0x100, s80                                  // 000000003470: 803C50FF 00000100
	s_cmp_lt_u32 s60, s81                                      // 000000003478: BF0A513C
	s_cselect_b32 s83, s83, 0                                  // 00000000347C: 85538053
	v_mfma_f32_16x16x32_fp8_fp8 v[64:67], a[38:39], a[14:15], v[64:67]// 000000003480: D3F30040 1D021D26
	s_add_u32 s24, s58, s24                                    // 000000003488: 8018183A
	s_addc_u32 s25, 0, s25                                     // 00000000348C: 82191980
	v_mfma_f32_16x16x32_fp8_fp8 v[68:71], a[40:41], a[8:9], v[68:71]// 000000003490: D3F30044 1D121128
	s_add_u32 s20, s57, s20                                    // 000000003498: 80141439
	s_addc_u32 s21, 0, s21                                     // 00000000349C: 82151580
	v_mfma_f32_16x16x32_fp8_fp8 v[68:71], a[42:43], a[10:11], v[68:71]// 0000000034A0: D3F30044 1D12152A
	buffer_load_dwordx4 a[92:95], v37, s[84:87], 0 offen offset:1024// 0000000034A8: E05C1400 80955C25
	v_mfma_f32_16x16x32_fp8_fp8 v[68:71], a[44:45], a[12:13], v[68:71]// 0000000034B0: D3F30044 1D12192C
	v_mfma_f32_16x16x32_fp8_fp8 v[68:71], a[46:47], a[14:15], v[68:71]// 0000000034B8: D3F30044 1D121D2E
	buffer_load_dwordx4 a[96:99], v38, s[84:87], 0 offen       // 0000000034C0: E05C1000 80956026
	buffer_load_dwordx4 a[100:103], v38, s[84:87], 0 offen offset:1024// 0000000034C8: E05C1400 80956426
	buffer_load_dwordx4 a[104:107], v39, s[84:87], 0 offen     // 0000000034D0: E05C1000 80956827
	buffer_load_dwordx4 a[108:111], v39, s[84:87], 0 offen offset:1024// 0000000034D8: E05C1400 80956C27
	s_add_u32 s84, s83, s84                                    // 0000000034E0: 80545453
	s_addc_u32 s85, 0, s85                                     // 0000000034E4: 82555580
	s_addk_i32 s80, 0x80                                       // 0000000034E8: B7500080
	s_cmp_lt_i32 s80, s81                                      // 0000000034EC: BF045150
	s_cbranch_scc0 label_04CA                                  // 0000000034F0: BF84020D
	s_waitcnt vmcnt(10) lgkmcnt(0)                             // 0000000034F4: BF8C007A
	v_mfma_f32_16x16x32_fp8_fp8 v[40:43], a[48:49], a[0:1], v[40:43]// 0000000034F8: D3F30028 1CA20130
	v_mfma_f32_16x16x32_fp8_fp8 v[40:43], a[50:51], a[2:3], v[40:43]// 000000003500: D3F30028 1CA20532
	buffer_load_dwordx4 a[16:19], v36, s[24:27], 0 offen       // 000000003508: E05C1000 80861024
	v_mfma_f32_16x16x32_fp8_fp8 v[40:43], a[52:53], a[4:5], v[40:43]// 000000003510: D3F30028 1CA20934
	v_mfma_f32_16x16x32_fp8_fp8 v[40:43], a[54:55], a[6:7], v[40:43]// 000000003518: D3F30028 1CA20D36
	v_mfma_f32_16x16x32_fp8_fp8 v[44:47], a[56:57], a[0:1], v[44:47]// 000000003520: D3F3002C 1CB20138
	v_mfma_f32_16x16x32_fp8_fp8 v[44:47], a[58:59], a[2:3], v[44:47]// 000000003528: D3F3002C 1CB2053A
	buffer_load_dwordx4 a[20:23], v36, s[24:27], 0 offen offset:1024// 000000003530: E05C1400 80861424
	v_mfma_f32_16x16x32_fp8_fp8 v[44:47], a[60:61], a[4:5], v[44:47]// 000000003538: D3F3002C 1CB2093C
	v_mfma_f32_16x16x32_fp8_fp8 v[44:47], a[62:63], a[6:7], v[44:47]// 000000003540: D3F3002C 1CB20D3E
	v_mfma_f32_16x16x32_fp8_fp8 v[48:51], a[64:65], a[0:1], v[48:51]// 000000003548: D3F30030 1CC20140
	v_mfma_f32_16x16x32_fp8_fp8 v[48:51], a[66:67], a[2:3], v[48:51]// 000000003550: D3F30030 1CC20542
	buffer_load_dwordx4 a[24:27], v37, s[24:27], 0 offen       // 000000003558: E05C1000 80861825
	v_mfma_f32_16x16x32_fp8_fp8 v[48:51], a[68:69], a[4:5], v[48:51]// 000000003560: D3F30030 1CC20944
	v_mfma_f32_16x16x32_fp8_fp8 v[48:51], a[70:71], a[6:7], v[48:51]// 000000003568: D3F30030 1CC20D46
	v_mfma_f32_16x16x32_fp8_fp8 v[52:55], a[72:73], a[0:1], v[52:55]// 000000003570: D3F30034 1CD20148
	v_mfma_f32_16x16x32_fp8_fp8 v[52:55], a[74:75], a[2:3], v[52:55]// 000000003578: D3F30034 1CD2054A
	buffer_load_dwordx4 a[28:31], v37, s[24:27], 0 offen offset:1024// 000000003580: E05C1400 80861C25
	v_mfma_f32_16x16x32_fp8_fp8 v[52:55], a[76:77], a[4:5], v[52:55]// 000000003588: D3F30034 1CD2094C
	v_mfma_f32_16x16x32_fp8_fp8 v[52:55], a[78:79], a[6:7], v[52:55]// 000000003590: D3F30034 1CD20D4E
	buffer_load_dwordx4 a[32:35], v38, s[24:27], 0 offen       // 000000003598: E05C1000 80862026
	buffer_load_dwordx4 a[36:39], v38, s[24:27], 0 offen offset:1024// 0000000035A0: E05C1400 80862426
	buffer_load_dwordx4 a[40:43], v39, s[24:27], 0 offen       // 0000000035A8: E05C1000 80862827
	buffer_load_dwordx4 a[44:47], v39, s[24:27], 0 offen offset:1024// 0000000035B0: E05C1400 80862C27
	buffer_load_dword v34, s[20:23], 0 offen lds               // 0000000035B8: E0511000 80050022
	s_add_u32 m0, 0x100, s49                                   // 0000000035C0: 807C31FF 00000100
	buffer_load_dword v35, s[20:23], 0 offen lds               // 0000000035C8: E0511000 80050023
	s_add_u32 m0, 0, s50                                       // 0000000035D0: 807C3280
	s_waitcnt vmcnt(10)                                        // 0000000035D4: BF8C0F7A
	s_barrier                                                  // 0000000035D8: BF8A0000
	v_mfma_f32_16x16x32_fp8_fp8 v[56:59], a[80:81], a[0:1], v[56:59]// 0000000035DC: D3F30038 1CE20150
	v_mfma_f32_16x16x32_fp8_fp8 v[56:59], a[82:83], a[2:3], v[56:59]// 0000000035E4: D3F30038 1CE20552
	buffer_load_dwordx4 a[48:51], v36, s[84:87], 0 offen       // 0000000035EC: E05C1000 80953024
	v_mfma_f32_16x16x32_fp8_fp8 v[56:59], a[84:85], a[4:5], v[56:59]// 0000000035F4: D3F30038 1CE20954
	v_mfma_f32_16x16x32_fp8_fp8 v[56:59], a[86:87], a[6:7], v[56:59]// 0000000035FC: D3F30038 1CE20D56
	ds_read_b128 a[8:11], v2                                   // 000000003604: DBFE0000 08000002
	ds_read_b128 a[12:15], v2 offset:64                        // 00000000360C: DBFE0040 0C000002
	v_mfma_f32_16x16x32_fp8_fp8 v[60:63], a[88:89], a[0:1], v[60:63]// 000000003614: D3F3003C 1CF20158
	v_mfma_f32_16x16x32_fp8_fp8 v[60:63], a[90:91], a[2:3], v[60:63]// 00000000361C: D3F3003C 1CF2055A
	buffer_load_dwordx4 a[52:55], v36, s[84:87], 0 offen offset:1024// 000000003624: E05C1400 80953424
	v_mfma_f32_16x16x32_fp8_fp8 v[60:63], a[92:93], a[4:5], v[60:63]// 00000000362C: D3F3003C 1CF2095C
	v_mfma_f32_16x16x32_fp8_fp8 v[60:63], a[94:95], a[6:7], v[60:63]// 000000003634: D3F3003C 1CF20D5E
	v_mfma_f32_16x16x32_fp8_fp8 v[64:67], a[96:97], a[0:1], v[64:67]// 00000000363C: D3F30040 1D020160
	s_add_u32 s60, 0x180, s80                                  // 000000003644: 803C50FF 00000180
	s_cmp_lt_u32 s60, s81                                      // 00000000364C: BF0A513C
	s_cselect_b32 s57, s57, 0                                  // 000000003650: 85398039
	v_mfma_f32_16x16x32_fp8_fp8 v[64:67], a[98:99], a[2:3], v[64:67]// 000000003654: D3F30040 1D020562
	buffer_load_dwordx4 a[56:59], v37, s[84:87], 0 offen       // 00000000365C: E05C1000 80953825
	s_add_u32 s60, 0x100, s80                                  // 000000003664: 803C50FF 00000100
	s_cmp_lt_u32 s60, s81                                      // 00000000366C: BF0A513C
	s_cselect_b32 s58, s58, 0                                  // 000000003670: 853A803A
	v_mfma_f32_16x16x32_fp8_fp8 v[64:67], a[100:101], a[4:5], v[64:67]// 000000003674: D3F30040 1D020964
	s_add_u32 s60, 0x100, s80                                  // 00000000367C: 803C50FF 00000100
	s_cmp_lt_u32 s60, s81                                      // 000000003684: BF0A513C
	s_cselect_b32 s83, s83, 0                                  // 000000003688: 85538053
	v_mfma_f32_16x16x32_fp8_fp8 v[64:67], a[102:103], a[6:7], v[64:67]// 00000000368C: D3F30040 1D020D66
	s_add_u32 s24, s58, s24                                    // 000000003694: 8018183A
	s_addc_u32 s25, 0, s25                                     // 000000003698: 82191980
	v_mfma_f32_16x16x32_fp8_fp8 v[68:71], a[104:105], a[0:1], v[68:71]// 00000000369C: D3F30044 1D120168
	s_add_u32 s20, s57, s20                                    // 0000000036A4: 80141439
	s_addc_u32 s21, 0, s21                                     // 0000000036A8: 82151580
	v_mfma_f32_16x16x32_fp8_fp8 v[68:71], a[106:107], a[2:3], v[68:71]// 0000000036AC: D3F30044 1D12056A
	buffer_load_dwordx4 a[60:63], v37, s[84:87], 0 offen offset:1024// 0000000036B4: E05C1400 80953C25
	v_mfma_f32_16x16x32_fp8_fp8 v[68:71], a[108:109], a[4:5], v[68:71]// 0000000036BC: D3F30044 1D12096C
	v_mfma_f32_16x16x32_fp8_fp8 v[68:71], a[110:111], a[6:7], v[68:71]// 0000000036C4: D3F30044 1D120D6E
	buffer_load_dwordx4 a[64:67], v38, s[84:87], 0 offen       // 0000000036CC: E05C1000 80954026
	buffer_load_dwordx4 a[68:71], v38, s[84:87], 0 offen offset:1024// 0000000036D4: E05C1400 80954426
	buffer_load_dwordx4 a[72:75], v39, s[84:87], 0 offen       // 0000000036DC: E05C1000 80954827
	buffer_load_dwordx4 a[76:79], v39, s[84:87], 0 offen offset:1024// 0000000036E4: E05C1400 80954C27
	s_add_u32 s84, s83, s84                                    // 0000000036EC: 80545453
	s_addc_u32 s85, 0, s85                                     // 0000000036F0: 82555580
	s_addk_i32 s80, 0x80                                       // 0000000036F4: B7500080
	s_cmp_lt_i32 s80, s81                                      // 0000000036F8: BF045150
	s_cbranch_scc0 label_04CA                                  // 0000000036FC: BF84018A
	s_waitcnt vmcnt(10) lgkmcnt(0)                             // 000000003700: BF8C007A
	v_mfma_f32_16x16x32_fp8_fp8 v[40:43], a[16:17], a[8:9], v[40:43]// 000000003704: D3F30028 1CA21110
	v_mfma_f32_16x16x32_fp8_fp8 v[40:43], a[18:19], a[10:11], v[40:43]// 00000000370C: D3F30028 1CA21512
	buffer_load_dwordx4 a[80:83], v36, s[24:27], 0 offen       // 000000003714: E05C1000 80865024
	v_mfma_f32_16x16x32_fp8_fp8 v[40:43], a[20:21], a[12:13], v[40:43]// 00000000371C: D3F30028 1CA21914
	v_mfma_f32_16x16x32_fp8_fp8 v[40:43], a[22:23], a[14:15], v[40:43]// 000000003724: D3F30028 1CA21D16
	v_mfma_f32_16x16x32_fp8_fp8 v[44:47], a[24:25], a[8:9], v[44:47]// 00000000372C: D3F3002C 1CB21118
	v_mfma_f32_16x16x32_fp8_fp8 v[44:47], a[26:27], a[10:11], v[44:47]// 000000003734: D3F3002C 1CB2151A
	buffer_load_dwordx4 a[84:87], v36, s[24:27], 0 offen offset:1024// 00000000373C: E05C1400 80865424
	v_mfma_f32_16x16x32_fp8_fp8 v[44:47], a[28:29], a[12:13], v[44:47]// 000000003744: D3F3002C 1CB2191C
	v_mfma_f32_16x16x32_fp8_fp8 v[44:47], a[30:31], a[14:15], v[44:47]// 00000000374C: D3F3002C 1CB21D1E
	v_mfma_f32_16x16x32_fp8_fp8 v[48:51], a[32:33], a[8:9], v[48:51]// 000000003754: D3F30030 1CC21120
	v_mfma_f32_16x16x32_fp8_fp8 v[48:51], a[34:35], a[10:11], v[48:51]// 00000000375C: D3F30030 1CC21522
	buffer_load_dwordx4 a[88:91], v37, s[24:27], 0 offen       // 000000003764: E05C1000 80865825
	v_mfma_f32_16x16x32_fp8_fp8 v[48:51], a[36:37], a[12:13], v[48:51]// 00000000376C: D3F30030 1CC21924
	v_mfma_f32_16x16x32_fp8_fp8 v[48:51], a[38:39], a[14:15], v[48:51]// 000000003774: D3F30030 1CC21D26
	v_mfma_f32_16x16x32_fp8_fp8 v[52:55], a[40:41], a[8:9], v[52:55]// 00000000377C: D3F30034 1CD21128
	v_mfma_f32_16x16x32_fp8_fp8 v[52:55], a[42:43], a[10:11], v[52:55]// 000000003784: D3F30034 1CD2152A
	buffer_load_dwordx4 a[92:95], v37, s[24:27], 0 offen offset:1024// 00000000378C: E05C1400 80865C25
	v_mfma_f32_16x16x32_fp8_fp8 v[52:55], a[44:45], a[12:13], v[52:55]// 000000003794: D3F30034 1CD2192C
	v_mfma_f32_16x16x32_fp8_fp8 v[52:55], a[46:47], a[14:15], v[52:55]// 00000000379C: D3F30034 1CD21D2E
	buffer_load_dwordx4 a[96:99], v38, s[24:27], 0 offen       // 0000000037A4: E05C1000 80866026
	buffer_load_dwordx4 a[100:103], v38, s[24:27], 0 offen offset:1024// 0000000037AC: E05C1400 80866426
	buffer_load_dwordx4 a[104:107], v39, s[24:27], 0 offen     // 0000000037B4: E05C1000 80866827
	buffer_load_dwordx4 a[108:111], v39, s[24:27], 0 offen offset:1024// 0000000037BC: E05C1400 80866C27
	buffer_load_dword v34, s[20:23], 0 offen lds               // 0000000037C4: E0511000 80050022
	s_add_u32 m0, 0x100, s50                                   // 0000000037CC: 807C32FF 00000100
	buffer_load_dword v35, s[20:23], 0 offen lds               // 0000000037D4: E0511000 80050023
	s_add_u32 m0, 0, s48                                       // 0000000037DC: 807C3080
	s_waitcnt vmcnt(10)                                        // 0000000037E0: BF8C0F7A
	s_barrier                                                  // 0000000037E4: BF8A0000
	v_mfma_f32_16x16x32_fp8_fp8 v[56:59], a[48:49], a[8:9], v[56:59]// 0000000037E8: D3F30038 1CE21130
	v_mfma_f32_16x16x32_fp8_fp8 v[56:59], a[50:51], a[10:11], v[56:59]// 0000000037F0: D3F30038 1CE21532
	buffer_load_dwordx4 a[16:19], v36, s[84:87], 0 offen       // 0000000037F8: E05C1000 80951024
	v_mfma_f32_16x16x32_fp8_fp8 v[56:59], a[52:53], a[12:13], v[56:59]// 000000003800: D3F30038 1CE21934
	v_mfma_f32_16x16x32_fp8_fp8 v[56:59], a[54:55], a[14:15], v[56:59]// 000000003808: D3F30038 1CE21D36
	ds_read_b128 a[0:3], v2 offset:2176                        // 000000003810: DBFE0880 00000002
	ds_read_b128 a[4:7], v2 offset:2240                        // 000000003818: DBFE08C0 04000002
	v_mfma_f32_16x16x32_fp8_fp8 v[60:63], a[56:57], a[8:9], v[60:63]// 000000003820: D3F3003C 1CF21138
	v_mfma_f32_16x16x32_fp8_fp8 v[60:63], a[58:59], a[10:11], v[60:63]// 000000003828: D3F3003C 1CF2153A
	buffer_load_dwordx4 a[20:23], v36, s[84:87], 0 offen offset:1024// 000000003830: E05C1400 80951424
	v_mfma_f32_16x16x32_fp8_fp8 v[60:63], a[60:61], a[12:13], v[60:63]// 000000003838: D3F3003C 1CF2193C
	v_mfma_f32_16x16x32_fp8_fp8 v[60:63], a[62:63], a[14:15], v[60:63]// 000000003840: D3F3003C 1CF21D3E
	v_mfma_f32_16x16x32_fp8_fp8 v[64:67], a[64:65], a[8:9], v[64:67]// 000000003848: D3F30040 1D021140
	s_add_u32 s60, 0x180, s80                                  // 000000003850: 803C50FF 00000180
	s_cmp_lt_u32 s60, s81                                      // 000000003858: BF0A513C
	s_cselect_b32 s57, s57, 0                                  // 00000000385C: 85398039
	v_mfma_f32_16x16x32_fp8_fp8 v[64:67], a[66:67], a[10:11], v[64:67]// 000000003860: D3F30040 1D021542
	buffer_load_dwordx4 a[24:27], v37, s[84:87], 0 offen       // 000000003868: E05C1000 80951825
	s_add_u32 s60, 0x100, s80                                  // 000000003870: 803C50FF 00000100
	s_cmp_lt_u32 s60, s81                                      // 000000003878: BF0A513C
	s_cselect_b32 s58, s58, 0                                  // 00000000387C: 853A803A
	v_mfma_f32_16x16x32_fp8_fp8 v[64:67], a[68:69], a[12:13], v[64:67]// 000000003880: D3F30040 1D021944
	s_add_u32 s60, 0x100, s80                                  // 000000003888: 803C50FF 00000100
	s_cmp_lt_u32 s60, s81                                      // 000000003890: BF0A513C
	s_cselect_b32 s83, s83, 0                                  // 000000003894: 85538053
	v_mfma_f32_16x16x32_fp8_fp8 v[64:67], a[70:71], a[14:15], v[64:67]// 000000003898: D3F30040 1D021D46
	s_add_u32 s24, s58, s24                                    // 0000000038A0: 8018183A
	s_addc_u32 s25, 0, s25                                     // 0000000038A4: 82191980
	v_mfma_f32_16x16x32_fp8_fp8 v[68:71], a[72:73], a[8:9], v[68:71]// 0000000038A8: D3F30044 1D121148
	s_add_u32 s20, s57, s20                                    // 0000000038B0: 80141439
	s_addc_u32 s21, 0, s21                                     // 0000000038B4: 82151580
	v_mfma_f32_16x16x32_fp8_fp8 v[68:71], a[74:75], a[10:11], v[68:71]// 0000000038B8: D3F30044 1D12154A
	buffer_load_dwordx4 a[28:31], v37, s[84:87], 0 offen offset:1024// 0000000038C0: E05C1400 80951C25
	v_mfma_f32_16x16x32_fp8_fp8 v[68:71], a[76:77], a[12:13], v[68:71]// 0000000038C8: D3F30044 1D12194C
	v_mfma_f32_16x16x32_fp8_fp8 v[68:71], a[78:79], a[14:15], v[68:71]// 0000000038D0: D3F30044 1D121D4E
	buffer_load_dwordx4 a[32:35], v38, s[84:87], 0 offen       // 0000000038D8: E05C1000 80952026
	buffer_load_dwordx4 a[36:39], v38, s[84:87], 0 offen offset:1024// 0000000038E0: E05C1400 80952426
	buffer_load_dwordx4 a[40:43], v39, s[84:87], 0 offen       // 0000000038E8: E05C1000 80952827
	buffer_load_dwordx4 a[44:47], v39, s[84:87], 0 offen offset:1024// 0000000038F0: E05C1400 80952C27
	s_add_u32 s84, s83, s84                                    // 0000000038F8: 80545453
	s_addc_u32 s85, 0, s85                                     // 0000000038FC: 82555580
	s_addk_i32 s80, 0x80                                       // 000000003900: B7500080
	s_cmp_lt_i32 s80, s81                                      // 000000003904: BF045150
	s_cbranch_scc0 label_04CA                                  // 000000003908: BF840107
	s_waitcnt vmcnt(10) lgkmcnt(0)                             // 00000000390C: BF8C007A
	v_mfma_f32_16x16x32_fp8_fp8 v[40:43], a[80:81], a[0:1], v[40:43]// 000000003910: D3F30028 1CA20150
	v_mfma_f32_16x16x32_fp8_fp8 v[40:43], a[82:83], a[2:3], v[40:43]// 000000003918: D3F30028 1CA20552
	buffer_load_dwordx4 a[48:51], v36, s[24:27], 0 offen       // 000000003920: E05C1000 80863024
	v_mfma_f32_16x16x32_fp8_fp8 v[40:43], a[84:85], a[4:5], v[40:43]// 000000003928: D3F30028 1CA20954
	v_mfma_f32_16x16x32_fp8_fp8 v[40:43], a[86:87], a[6:7], v[40:43]// 000000003930: D3F30028 1CA20D56
	v_mfma_f32_16x16x32_fp8_fp8 v[44:47], a[88:89], a[0:1], v[44:47]// 000000003938: D3F3002C 1CB20158
	v_mfma_f32_16x16x32_fp8_fp8 v[44:47], a[90:91], a[2:3], v[44:47]// 000000003940: D3F3002C 1CB2055A
	buffer_load_dwordx4 a[52:55], v36, s[24:27], 0 offen offset:1024// 000000003948: E05C1400 80863424
	v_mfma_f32_16x16x32_fp8_fp8 v[44:47], a[92:93], a[4:5], v[44:47]// 000000003950: D3F3002C 1CB2095C
	v_mfma_f32_16x16x32_fp8_fp8 v[44:47], a[94:95], a[6:7], v[44:47]// 000000003958: D3F3002C 1CB20D5E
	v_mfma_f32_16x16x32_fp8_fp8 v[48:51], a[96:97], a[0:1], v[48:51]// 000000003960: D3F30030 1CC20160
	v_mfma_f32_16x16x32_fp8_fp8 v[48:51], a[98:99], a[2:3], v[48:51]// 000000003968: D3F30030 1CC20562
	buffer_load_dwordx4 a[56:59], v37, s[24:27], 0 offen       // 000000003970: E05C1000 80863825
	v_mfma_f32_16x16x32_fp8_fp8 v[48:51], a[100:101], a[4:5], v[48:51]// 000000003978: D3F30030 1CC20964
	v_mfma_f32_16x16x32_fp8_fp8 v[48:51], a[102:103], a[6:7], v[48:51]// 000000003980: D3F30030 1CC20D66
	v_mfma_f32_16x16x32_fp8_fp8 v[52:55], a[104:105], a[0:1], v[52:55]// 000000003988: D3F30034 1CD20168
	v_mfma_f32_16x16x32_fp8_fp8 v[52:55], a[106:107], a[2:3], v[52:55]// 000000003990: D3F30034 1CD2056A
	buffer_load_dwordx4 a[60:63], v37, s[24:27], 0 offen offset:1024// 000000003998: E05C1400 80863C25
	v_mfma_f32_16x16x32_fp8_fp8 v[52:55], a[108:109], a[4:5], v[52:55]// 0000000039A0: D3F30034 1CD2096C
	v_mfma_f32_16x16x32_fp8_fp8 v[52:55], a[110:111], a[6:7], v[52:55]// 0000000039A8: D3F30034 1CD20D6E
	buffer_load_dwordx4 a[64:67], v38, s[24:27], 0 offen       // 0000000039B0: E05C1000 80864026
	buffer_load_dwordx4 a[68:71], v38, s[24:27], 0 offen offset:1024// 0000000039B8: E05C1400 80864426
	buffer_load_dwordx4 a[72:75], v39, s[24:27], 0 offen       // 0000000039C0: E05C1000 80864827
	buffer_load_dwordx4 a[76:79], v39, s[24:27], 0 offen offset:1024// 0000000039C8: E05C1400 80864C27
	buffer_load_dword v34, s[20:23], 0 offen lds               // 0000000039D0: E0511000 80050022
	s_add_u32 m0, 0x100, s48                                   // 0000000039D8: 807C30FF 00000100
	buffer_load_dword v35, s[20:23], 0 offen lds               // 0000000039E0: E0511000 80050023
	s_add_u32 m0, 0, s49                                       // 0000000039E8: 807C3180
	s_waitcnt vmcnt(10)                                        // 0000000039EC: BF8C0F7A
	s_barrier                                                  // 0000000039F0: BF8A0000
	v_mfma_f32_16x16x32_fp8_fp8 v[56:59], a[16:17], a[0:1], v[56:59]// 0000000039F4: D3F30038 1CE20110
	v_mfma_f32_16x16x32_fp8_fp8 v[56:59], a[18:19], a[2:3], v[56:59]// 0000000039FC: D3F30038 1CE20512
	buffer_load_dwordx4 a[80:83], v36, s[84:87], 0 offen       // 000000003A04: E05C1000 80955024
	v_mfma_f32_16x16x32_fp8_fp8 v[56:59], a[20:21], a[4:5], v[56:59]// 000000003A0C: D3F30038 1CE20914
	v_mfma_f32_16x16x32_fp8_fp8 v[56:59], a[22:23], a[6:7], v[56:59]// 000000003A14: D3F30038 1CE20D16
	ds_read_b128 a[8:11], v2 offset:4352                       // 000000003A1C: DBFE1100 08000002
	ds_read_b128 a[12:15], v2 offset:4416                      // 000000003A24: DBFE1140 0C000002
	v_mfma_f32_16x16x32_fp8_fp8 v[60:63], a[24:25], a[0:1], v[60:63]// 000000003A2C: D3F3003C 1CF20118
	v_mfma_f32_16x16x32_fp8_fp8 v[60:63], a[26:27], a[2:3], v[60:63]// 000000003A34: D3F3003C 1CF2051A
	buffer_load_dwordx4 a[84:87], v36, s[84:87], 0 offen offset:1024// 000000003A3C: E05C1400 80955424
	v_mfma_f32_16x16x32_fp8_fp8 v[60:63], a[28:29], a[4:5], v[60:63]// 000000003A44: D3F3003C 1CF2091C
	v_mfma_f32_16x16x32_fp8_fp8 v[60:63], a[30:31], a[6:7], v[60:63]// 000000003A4C: D3F3003C 1CF20D1E
	v_mfma_f32_16x16x32_fp8_fp8 v[64:67], a[32:33], a[0:1], v[64:67]// 000000003A54: D3F30040 1D020120
	s_add_u32 s60, 0x180, s80                                  // 000000003A5C: 803C50FF 00000180
	s_cmp_lt_u32 s60, s81                                      // 000000003A64: BF0A513C
	s_cselect_b32 s57, s57, 0                                  // 000000003A68: 85398039
	v_mfma_f32_16x16x32_fp8_fp8 v[64:67], a[34:35], a[2:3], v[64:67]// 000000003A6C: D3F30040 1D020522
	buffer_load_dwordx4 a[88:91], v37, s[84:87], 0 offen       // 000000003A74: E05C1000 80955825
	s_add_u32 s60, 0x100, s80                                  // 000000003A7C: 803C50FF 00000100
	s_cmp_lt_u32 s60, s81                                      // 000000003A84: BF0A513C
	s_cselect_b32 s58, s58, 0                                  // 000000003A88: 853A803A
	v_mfma_f32_16x16x32_fp8_fp8 v[64:67], a[36:37], a[4:5], v[64:67]// 000000003A8C: D3F30040 1D020924
	s_add_u32 s60, 0x100, s80                                  // 000000003A94: 803C50FF 00000100
	s_cmp_lt_u32 s60, s81                                      // 000000003A9C: BF0A513C
	s_cselect_b32 s83, s83, 0                                  // 000000003AA0: 85538053
	v_mfma_f32_16x16x32_fp8_fp8 v[64:67], a[38:39], a[6:7], v[64:67]// 000000003AA4: D3F30040 1D020D26
	s_add_u32 s24, s58, s24                                    // 000000003AAC: 8018183A
	s_addc_u32 s25, 0, s25                                     // 000000003AB0: 82191980
	v_mfma_f32_16x16x32_fp8_fp8 v[68:71], a[40:41], a[0:1], v[68:71]// 000000003AB4: D3F30044 1D120128
	s_add_u32 s20, s57, s20                                    // 000000003ABC: 80141439
	s_addc_u32 s21, 0, s21                                     // 000000003AC0: 82151580
	v_mfma_f32_16x16x32_fp8_fp8 v[68:71], a[42:43], a[2:3], v[68:71]// 000000003AC4: D3F30044 1D12052A
	buffer_load_dwordx4 a[92:95], v37, s[84:87], 0 offen offset:1024// 000000003ACC: E05C1400 80955C25
	v_mfma_f32_16x16x32_fp8_fp8 v[68:71], a[44:45], a[4:5], v[68:71]// 000000003AD4: D3F30044 1D12092C
	v_mfma_f32_16x16x32_fp8_fp8 v[68:71], a[46:47], a[6:7], v[68:71]// 000000003ADC: D3F30044 1D120D2E
	buffer_load_dwordx4 a[96:99], v38, s[84:87], 0 offen       // 000000003AE4: E05C1000 80956026
	buffer_load_dwordx4 a[100:103], v38, s[84:87], 0 offen offset:1024// 000000003AEC: E05C1400 80956426
	buffer_load_dwordx4 a[104:107], v39, s[84:87], 0 offen     // 000000003AF4: E05C1000 80956827
	buffer_load_dwordx4 a[108:111], v39, s[84:87], 0 offen offset:1024// 000000003AFC: E05C1400 80956C27
	s_add_u32 s84, s83, s84                                    // 000000003B04: 80545453
	s_addc_u32 s85, 0, s85                                     // 000000003B08: 82555580
	s_addk_i32 s80, 0x80                                       // 000000003B0C: B7500080
	s_cmp_lt_i32 s80, s81                                      // 000000003B10: BF045150
	s_cbranch_scc0 label_04CA                                  // 000000003B14: BF840084
	s_waitcnt vmcnt(10) lgkmcnt(0)                             // 000000003B18: BF8C007A
	v_mfma_f32_16x16x32_fp8_fp8 v[40:43], a[48:49], a[8:9], v[40:43]// 000000003B1C: D3F30028 1CA21130
	v_mfma_f32_16x16x32_fp8_fp8 v[40:43], a[50:51], a[10:11], v[40:43]// 000000003B24: D3F30028 1CA21532
	buffer_load_dwordx4 a[16:19], v36, s[24:27], 0 offen       // 000000003B2C: E05C1000 80861024
	v_mfma_f32_16x16x32_fp8_fp8 v[40:43], a[52:53], a[12:13], v[40:43]// 000000003B34: D3F30028 1CA21934
	v_mfma_f32_16x16x32_fp8_fp8 v[40:43], a[54:55], a[14:15], v[40:43]// 000000003B3C: D3F30028 1CA21D36
	v_mfma_f32_16x16x32_fp8_fp8 v[44:47], a[56:57], a[8:9], v[44:47]// 000000003B44: D3F3002C 1CB21138
	v_mfma_f32_16x16x32_fp8_fp8 v[44:47], a[58:59], a[10:11], v[44:47]// 000000003B4C: D3F3002C 1CB2153A
	buffer_load_dwordx4 a[20:23], v36, s[24:27], 0 offen offset:1024// 000000003B54: E05C1400 80861424
	v_mfma_f32_16x16x32_fp8_fp8 v[44:47], a[60:61], a[12:13], v[44:47]// 000000003B5C: D3F3002C 1CB2193C
	v_mfma_f32_16x16x32_fp8_fp8 v[44:47], a[62:63], a[14:15], v[44:47]// 000000003B64: D3F3002C 1CB21D3E
	v_mfma_f32_16x16x32_fp8_fp8 v[48:51], a[64:65], a[8:9], v[48:51]// 000000003B6C: D3F30030 1CC21140
	v_mfma_f32_16x16x32_fp8_fp8 v[48:51], a[66:67], a[10:11], v[48:51]// 000000003B74: D3F30030 1CC21542
	buffer_load_dwordx4 a[24:27], v37, s[24:27], 0 offen       // 000000003B7C: E05C1000 80861825
	v_mfma_f32_16x16x32_fp8_fp8 v[48:51], a[68:69], a[12:13], v[48:51]// 000000003B84: D3F30030 1CC21944
	v_mfma_f32_16x16x32_fp8_fp8 v[48:51], a[70:71], a[14:15], v[48:51]// 000000003B8C: D3F30030 1CC21D46
	v_mfma_f32_16x16x32_fp8_fp8 v[52:55], a[72:73], a[8:9], v[52:55]// 000000003B94: D3F30034 1CD21148
	v_mfma_f32_16x16x32_fp8_fp8 v[52:55], a[74:75], a[10:11], v[52:55]// 000000003B9C: D3F30034 1CD2154A
	buffer_load_dwordx4 a[28:31], v37, s[24:27], 0 offen offset:1024// 000000003BA4: E05C1400 80861C25
	v_mfma_f32_16x16x32_fp8_fp8 v[52:55], a[76:77], a[12:13], v[52:55]// 000000003BAC: D3F30034 1CD2194C
	v_mfma_f32_16x16x32_fp8_fp8 v[52:55], a[78:79], a[14:15], v[52:55]// 000000003BB4: D3F30034 1CD21D4E
	buffer_load_dwordx4 a[32:35], v38, s[24:27], 0 offen       // 000000003BBC: E05C1000 80862026
	buffer_load_dwordx4 a[36:39], v38, s[24:27], 0 offen offset:1024// 000000003BC4: E05C1400 80862426
	buffer_load_dwordx4 a[40:43], v39, s[24:27], 0 offen       // 000000003BCC: E05C1000 80862827
	buffer_load_dwordx4 a[44:47], v39, s[24:27], 0 offen offset:1024// 000000003BD4: E05C1400 80862C27
	buffer_load_dword v34, s[20:23], 0 offen lds               // 000000003BDC: E0511000 80050022
	s_add_u32 m0, 0x100, s49                                   // 000000003BE4: 807C31FF 00000100
	buffer_load_dword v35, s[20:23], 0 offen lds               // 000000003BEC: E0511000 80050023
	s_add_u32 m0, 0, s50                                       // 000000003BF4: 807C3280
	s_waitcnt vmcnt(10)                                        // 000000003BF8: BF8C0F7A
	s_barrier                                                  // 000000003BFC: BF8A0000
	v_mfma_f32_16x16x32_fp8_fp8 v[56:59], a[80:81], a[8:9], v[56:59]// 000000003C00: D3F30038 1CE21150
	v_mfma_f32_16x16x32_fp8_fp8 v[56:59], a[82:83], a[10:11], v[56:59]// 000000003C08: D3F30038 1CE21552
	buffer_load_dwordx4 a[48:51], v36, s[84:87], 0 offen       // 000000003C10: E05C1000 80953024
	v_mfma_f32_16x16x32_fp8_fp8 v[56:59], a[84:85], a[12:13], v[56:59]// 000000003C18: D3F30038 1CE21954
	v_mfma_f32_16x16x32_fp8_fp8 v[56:59], a[86:87], a[14:15], v[56:59]// 000000003C20: D3F30038 1CE21D56
	ds_read_b128 a[0:3], v2                                    // 000000003C28: DBFE0000 00000002
	ds_read_b128 a[4:7], v2 offset:64                          // 000000003C30: DBFE0040 04000002
	v_mfma_f32_16x16x32_fp8_fp8 v[60:63], a[88:89], a[8:9], v[60:63]// 000000003C38: D3F3003C 1CF21158
	v_mfma_f32_16x16x32_fp8_fp8 v[60:63], a[90:91], a[10:11], v[60:63]// 000000003C40: D3F3003C 1CF2155A
	buffer_load_dwordx4 a[52:55], v36, s[84:87], 0 offen offset:1024// 000000003C48: E05C1400 80953424
	v_mfma_f32_16x16x32_fp8_fp8 v[60:63], a[92:93], a[12:13], v[60:63]// 000000003C50: D3F3003C 1CF2195C
	v_mfma_f32_16x16x32_fp8_fp8 v[60:63], a[94:95], a[14:15], v[60:63]// 000000003C58: D3F3003C 1CF21D5E
	v_mfma_f32_16x16x32_fp8_fp8 v[64:67], a[96:97], a[8:9], v[64:67]// 000000003C60: D3F30040 1D021160
	s_add_u32 s60, 0x180, s80                                  // 000000003C68: 803C50FF 00000180
	s_cmp_lt_u32 s60, s81                                      // 000000003C70: BF0A513C
	s_cselect_b32 s57, s57, 0                                  // 000000003C74: 85398039
	v_mfma_f32_16x16x32_fp8_fp8 v[64:67], a[98:99], a[10:11], v[64:67]// 000000003C78: D3F30040 1D021562
	buffer_load_dwordx4 a[56:59], v37, s[84:87], 0 offen       // 000000003C80: E05C1000 80953825
	s_add_u32 s60, 0x100, s80                                  // 000000003C88: 803C50FF 00000100
	s_cmp_lt_u32 s60, s81                                      // 000000003C90: BF0A513C
	s_cselect_b32 s58, s58, 0                                  // 000000003C94: 853A803A
	v_mfma_f32_16x16x32_fp8_fp8 v[64:67], a[100:101], a[12:13], v[64:67]// 000000003C98: D3F30040 1D021964
	s_add_u32 s60, 0x100, s80                                  // 000000003CA0: 803C50FF 00000100
	s_cmp_lt_u32 s60, s81                                      // 000000003CA8: BF0A513C
	s_cselect_b32 s83, s83, 0                                  // 000000003CAC: 85538053
	v_mfma_f32_16x16x32_fp8_fp8 v[64:67], a[102:103], a[14:15], v[64:67]// 000000003CB0: D3F30040 1D021D66
	s_add_u32 s24, s58, s24                                    // 000000003CB8: 8018183A
	s_addc_u32 s25, 0, s25                                     // 000000003CBC: 82191980
	v_mfma_f32_16x16x32_fp8_fp8 v[68:71], a[104:105], a[8:9], v[68:71]// 000000003CC0: D3F30044 1D121168
	s_add_u32 s20, s57, s20                                    // 000000003CC8: 80141439
	s_addc_u32 s21, 0, s21                                     // 000000003CCC: 82151580
	v_mfma_f32_16x16x32_fp8_fp8 v[68:71], a[106:107], a[10:11], v[68:71]// 000000003CD0: D3F30044 1D12156A
	buffer_load_dwordx4 a[60:63], v37, s[84:87], 0 offen offset:1024// 000000003CD8: E05C1400 80953C25
	v_mfma_f32_16x16x32_fp8_fp8 v[68:71], a[108:109], a[12:13], v[68:71]// 000000003CE0: D3F30044 1D12196C
	v_mfma_f32_16x16x32_fp8_fp8 v[68:71], a[110:111], a[14:15], v[68:71]// 000000003CE8: D3F30044 1D121D6E
	buffer_load_dwordx4 a[64:67], v38, s[84:87], 0 offen       // 000000003CF0: E05C1000 80954026
	buffer_load_dwordx4 a[68:71], v38, s[84:87], 0 offen offset:1024// 000000003CF8: E05C1400 80954426
	buffer_load_dwordx4 a[72:75], v39, s[84:87], 0 offen       // 000000003D00: E05C1000 80954827
	buffer_load_dwordx4 a[76:79], v39, s[84:87], 0 offen offset:1024// 000000003D08: E05C1400 80954C27
	s_add_u32 s84, s83, s84                                    // 000000003D10: 80545453
	s_addc_u32 s85, 0, s85                                     // 000000003D14: 82555580
	s_addk_i32 s80, 0x80                                       // 000000003D18: B7500080
	s_cmp_lt_i32 s80, s81                                      // 000000003D1C: BF045150
	s_cbranch_scc0 label_04CA                                  // 000000003D20: BF840001
	s_branch label_01B7                                        // 000000003D24: BF82FCED

0000000000003d28 <label_04CA>:
	v_mul_f32_dpp v40, v24, v40 row_newbcast:0 row_mask:0xf bank_mask:0xf// 000000003D28: 0A5050FA FF015018
	v_mul_f32_dpp v41, v24, v41 row_newbcast:1 row_mask:0xf bank_mask:0xf// 000000003D30: 0A5252FA FF015118
	v_mul_f32_dpp v42, v24, v42 row_newbcast:2 row_mask:0xf bank_mask:0xf// 000000003D38: 0A5454FA FF015218
	v_mul_f32_dpp v43, v24, v43 row_newbcast:3 row_mask:0xf bank_mask:0xf// 000000003D40: 0A5656FA FF015318
	v_mul_f32_dpp v44, v24, v44 row_newbcast:4 row_mask:0xf bank_mask:0xf// 000000003D48: 0A5858FA FF015418
	v_mul_f32_dpp v45, v24, v45 row_newbcast:5 row_mask:0xf bank_mask:0xf// 000000003D50: 0A5A5AFA FF015518
	v_mul_f32_dpp v46, v24, v46 row_newbcast:6 row_mask:0xf bank_mask:0xf// 000000003D58: 0A5C5CFA FF015618
	v_mul_f32_dpp v47, v24, v47 row_newbcast:7 row_mask:0xf bank_mask:0xf// 000000003D60: 0A5E5EFA FF015718
	v_mul_f32_dpp v48, v24, v48 row_newbcast:8 row_mask:0xf bank_mask:0xf// 000000003D68: 0A6060FA FF015818
	v_mul_f32_dpp v49, v24, v49 row_newbcast:9 row_mask:0xf bank_mask:0xf// 000000003D70: 0A6262FA FF015918
	v_mul_f32_dpp v50, v24, v50 row_newbcast:10 row_mask:0xf bank_mask:0xf// 000000003D78: 0A6464FA FF015A18
	v_mul_f32_dpp v51, v24, v51 row_newbcast:11 row_mask:0xf bank_mask:0xf// 000000003D80: 0A6666FA FF015B18
	v_mul_f32_dpp v52, v24, v52 row_newbcast:12 row_mask:0xf bank_mask:0xf// 000000003D88: 0A6868FA FF015C18
	v_mul_f32_dpp v53, v24, v53 row_newbcast:13 row_mask:0xf bank_mask:0xf// 000000003D90: 0A6A6AFA FF015D18
	v_mul_f32_dpp v54, v24, v54 row_newbcast:14 row_mask:0xf bank_mask:0xf// 000000003D98: 0A6C6CFA FF015E18
	v_mul_f32_dpp v55, v24, v55 row_newbcast:15 row_mask:0xf bank_mask:0xf// 000000003DA0: 0A6E6EFA FF015F18
	v_mul_f32_dpp v56, v27, v56 row_newbcast:0 row_mask:0xf bank_mask:0xf// 000000003DA8: 0A7070FA FF01501B
	v_mul_f32_dpp v57, v27, v57 row_newbcast:1 row_mask:0xf bank_mask:0xf// 000000003DB0: 0A7272FA FF01511B
	v_mul_f32_dpp v58, v27, v58 row_newbcast:2 row_mask:0xf bank_mask:0xf// 000000003DB8: 0A7474FA FF01521B
	v_mul_f32_dpp v59, v27, v59 row_newbcast:3 row_mask:0xf bank_mask:0xf// 000000003DC0: 0A7676FA FF01531B
	v_mul_f32_dpp v60, v27, v60 row_newbcast:4 row_mask:0xf bank_mask:0xf// 000000003DC8: 0A7878FA FF01541B
	v_mul_f32_dpp v61, v27, v61 row_newbcast:5 row_mask:0xf bank_mask:0xf// 000000003DD0: 0A7A7AFA FF01551B
	v_mul_f32_dpp v62, v27, v62 row_newbcast:6 row_mask:0xf bank_mask:0xf// 000000003DD8: 0A7C7CFA FF01561B
	v_mul_f32_dpp v63, v27, v63 row_newbcast:7 row_mask:0xf bank_mask:0xf// 000000003DE0: 0A7E7EFA FF01571B
	v_mul_f32_dpp v64, v27, v64 row_newbcast:8 row_mask:0xf bank_mask:0xf// 000000003DE8: 0A8080FA FF01581B
	v_mul_f32_dpp v65, v27, v65 row_newbcast:9 row_mask:0xf bank_mask:0xf// 000000003DF0: 0A8282FA FF01591B
	v_mul_f32_dpp v66, v27, v66 row_newbcast:10 row_mask:0xf bank_mask:0xf// 000000003DF8: 0A8484FA FF015A1B
	v_mul_f32_dpp v67, v27, v67 row_newbcast:11 row_mask:0xf bank_mask:0xf// 000000003E00: 0A8686FA FF015B1B
	v_mul_f32_dpp v68, v27, v68 row_newbcast:12 row_mask:0xf bank_mask:0xf// 000000003E08: 0A8888FA FF015C1B
	v_mul_f32_dpp v69, v27, v69 row_newbcast:13 row_mask:0xf bank_mask:0xf// 000000003E10: 0A8A8AFA FF015D1B
	v_mul_f32_dpp v70, v27, v70 row_newbcast:14 row_mask:0xf bank_mask:0xf// 000000003E18: 0A8C8CFA FF015E1B
	v_mul_f32_dpp v71, v27, v71 row_newbcast:15 row_mask:0xf bank_mask:0xf// 000000003E20: 0A8E8EFA FF015F1B
	v_mul_f32_e32 v31, v31, v72                                // 000000003E28: 0A3E911F
	v_mov_b32_e32 v4, v31                                      // 000000003E2C: 7E08031F
	v_mov_b32_e32 v5, v4                                       // 000000003E30: 7E0A0304
	v_pk_mul_f32 v[40:41], v[4:5], v[40:41]                    // 000000003E34: D3B14028 18025104
	v_pk_mul_f32 v[56:57], v[4:5], v[56:57]                    // 000000003E3C: D3B14038 18027104
	v_pk_mul_f32 v[42:43], v[4:5], v[42:43]                    // 000000003E44: D3B1402A 18025504
	v_pk_mul_f32 v[58:59], v[4:5], v[58:59]                    // 000000003E4C: D3B1403A 18027504
	v_pk_mul_f32 v[44:45], v[4:5], v[44:45]                    // 000000003E54: D3B1402C 18025904
	v_pk_mul_f32 v[60:61], v[4:5], v[60:61]                    // 000000003E5C: D3B1403C 18027904
	v_pk_mul_f32 v[46:47], v[4:5], v[46:47]                    // 000000003E64: D3B1402E 18025D04
	v_pk_mul_f32 v[62:63], v[4:5], v[62:63]                    // 000000003E6C: D3B1403E 18027D04
	v_pk_mul_f32 v[48:49], v[4:5], v[48:49]                    // 000000003E74: D3B14030 18026104
	v_pk_mul_f32 v[64:65], v[4:5], v[64:65]                    // 000000003E7C: D3B14040 18028104
	v_pk_mul_f32 v[50:51], v[4:5], v[50:51]                    // 000000003E84: D3B14032 18026504
	v_pk_mul_f32 v[66:67], v[4:5], v[66:67]                    // 000000003E8C: D3B14042 18028504
	v_pk_mul_f32 v[52:53], v[4:5], v[52:53]                    // 000000003E94: D3B14034 18026904
	v_pk_mul_f32 v[68:69], v[4:5], v[68:69]                    // 000000003E9C: D3B14044 18028904
	v_pk_mul_f32 v[54:55], v[4:5], v[54:55]                    // 000000003EA4: D3B14036 18026D04
	v_pk_mul_f32 v[70:71], v[4:5], v[70:71]                    // 000000003EAC: D3B14046 18028D04
	s_cmp_eq_u32 s88, 0                                        // 000000003EB4: BF068058
	s_cbranch_scc0 label_0754                                  // 000000003EB8: BF840225
	s_cmp_eq_u32 s89, 0                                        // 000000003EBC: BF068059
	s_cbranch_scc1 label_05D6                                  // 000000003EC0: BF8500A5
	v_mov_b32_e32 v8, v1                                       // 000000003EC4: 7E100301
	v_mov_b32_e32 v9, v1                                       // 000000003EC8: 7E120301
	s_mov_b32 s60, s6                                          // 000000003ECC: BEBC0006
	s_mov_b32 s61, s6                                          // 000000003ED0: BEBD0006
	v_pk_mul_f32 v[4:5], v[40:41], v[40:41]                    // 000000003ED4: D3B14004 18025128
	v_pk_mul_f32 v[6:7], v[42:43], v[42:43]                    // 000000003EDC: D3B14006 1802552A
	v_pk_fma_f32 v[4:5], v[4:5], s[78:79], v[8:9]              // 000000003EE4: D3B04004 1C209D04
	v_pk_fma_f32 v[6:7], v[6:7], s[78:79], v[8:9]              // 000000003EEC: D3B04006 1C209D06
	v_pk_mul_f32 v[4:5], v[4:5], v[40:41]                      // 000000003EF4: D3B14004 18025104
	v_pk_mul_f32 v[6:7], v[6:7], v[42:43]                      // 000000003EFC: D3B14006 18025506
	v_pk_mul_f32 v[4:5], v[4:5], s[60:61]                      // 000000003F04: D3B14004 18007904
	v_pk_mul_f32 v[6:7], v[6:7], s[60:61]                      // 000000003F0C: D3B14006 18007906
	v_exp_f32_e32 v4, v4                                       // 000000003F14: 7E084104
	v_exp_f32_e32 v5, v5                                       // 000000003F18: 7E0A4105
	v_exp_f32_e32 v6, v6                                       // 000000003F1C: 7E0C4106
	v_exp_f32_e32 v7, v7                                       // 000000003F20: 7E0E4107
	v_add_f32_e64 v4, v4, 1.0                                  // 000000003F24: D1010004 0001E504
	v_add_f32_e64 v5, v5, 1.0                                  // 000000003F2C: D1010005 0001E505
	v_add_f32_e64 v6, v6, 1.0                                  // 000000003F34: D1010006 0001E506
	v_add_f32_e64 v7, v7, 1.0                                  // 000000003F3C: D1010007 0001E507
	v_rcp_f32_e32 v4, v4                                       // 000000003F44: 7E084504
	v_rcp_f32_e32 v5, v5                                       // 000000003F48: 7E0A4505
	v_rcp_f32_e32 v6, v6                                       // 000000003F4C: 7E0C4506
	v_rcp_f32_e32 v7, v7                                       // 000000003F50: 7E0E4507
	v_mul_f32_e32 v40, v40, v4                                 // 000000003F54: 0A500928
	v_mul_f32_e32 v41, v41, v5                                 // 000000003F58: 0A520B29
	v_mul_f32_e32 v42, v42, v6                                 // 000000003F5C: 0A540D2A
	v_mul_f32_e32 v43, v43, v7                                 // 000000003F60: 0A560F2B
	v_mul_f32_e32 v40, v40, v56                                // 000000003F64: 0A507128
	v_mul_f32_e32 v41, v41, v57                                // 000000003F68: 0A527329
	v_mul_f32_e32 v42, v42, v58                                // 000000003F6C: 0A54752A
	v_mul_f32_e32 v43, v43, v59                                // 000000003F70: 0A56772B
	v_pk_mul_f32 v[4:5], v[44:45], v[44:45]                    // 000000003F74: D3B14004 1802592C
	v_pk_mul_f32 v[6:7], v[46:47], v[46:47]                    // 000000003F7C: D3B14006 18025D2E
	v_pk_fma_f32 v[4:5], v[4:5], s[78:79], v[8:9]              // 000000003F84: D3B04004 1C209D04
	v_pk_fma_f32 v[6:7], v[6:7], s[78:79], v[8:9]              // 000000003F8C: D3B04006 1C209D06
	v_pk_mul_f32 v[4:5], v[4:5], v[44:45]                      // 000000003F94: D3B14004 18025904
	v_pk_mul_f32 v[6:7], v[6:7], v[46:47]                      // 000000003F9C: D3B14006 18025D06
	v_pk_mul_f32 v[4:5], v[4:5], s[60:61]                      // 000000003FA4: D3B14004 18007904
	v_pk_mul_f32 v[6:7], v[6:7], s[60:61]                      // 000000003FAC: D3B14006 18007906
	v_exp_f32_e32 v4, v4                                       // 000000003FB4: 7E084104
	v_exp_f32_e32 v5, v5                                       // 000000003FB8: 7E0A4105
	v_exp_f32_e32 v6, v6                                       // 000000003FBC: 7E0C4106
	v_exp_f32_e32 v7, v7                                       // 000000003FC0: 7E0E4107
	v_add_f32_e64 v4, v4, 1.0                                  // 000000003FC4: D1010004 0001E504
	v_add_f32_e64 v5, v5, 1.0                                  // 000000003FCC: D1010005 0001E505
	v_add_f32_e64 v6, v6, 1.0                                  // 000000003FD4: D1010006 0001E506
	v_add_f32_e64 v7, v7, 1.0                                  // 000000003FDC: D1010007 0001E507
	v_rcp_f32_e32 v4, v4                                       // 000000003FE4: 7E084504
	v_rcp_f32_e32 v5, v5                                       // 000000003FE8: 7E0A4505
	v_rcp_f32_e32 v6, v6                                       // 000000003FEC: 7E0C4506
	v_rcp_f32_e32 v7, v7                                       // 000000003FF0: 7E0E4507
	v_mul_f32_e32 v44, v44, v4                                 // 000000003FF4: 0A58092C
	v_mul_f32_e32 v45, v45, v5                                 // 000000003FF8: 0A5A0B2D
	v_mul_f32_e32 v46, v46, v6                                 // 000000003FFC: 0A5C0D2E
	v_mul_f32_e32 v47, v47, v7                                 // 000000004000: 0A5E0F2F
	v_mul_f32_e32 v44, v44, v60                                // 000000004004: 0A58792C
	v_mul_f32_e32 v45, v45, v61                                // 000000004008: 0A5A7B2D
	v_mul_f32_e32 v46, v46, v62                                // 00000000400C: 0A5C7D2E
	v_mul_f32_e32 v47, v47, v63                                // 000000004010: 0A5E7F2F
	v_pk_mul_f32 v[4:5], v[48:49], v[48:49]                    // 000000004014: D3B14004 18026130
	v_pk_mul_f32 v[6:7], v[50:51], v[50:51]                    // 00000000401C: D3B14006 18026532
	v_pk_fma_f32 v[4:5], v[4:5], s[78:79], v[8:9]              // 000000004024: D3B04004 1C209D04
	v_pk_fma_f32 v[6:7], v[6:7], s[78:79], v[8:9]              // 00000000402C: D3B04006 1C209D06
	v_pk_mul_f32 v[4:5], v[4:5], v[48:49]                      // 000000004034: D3B14004 18026104
	v_pk_mul_f32 v[6:7], v[6:7], v[50:51]                      // 00000000403C: D3B14006 18026506
	v_pk_mul_f32 v[4:5], v[4:5], s[60:61]                      // 000000004044: D3B14004 18007904
	v_pk_mul_f32 v[6:7], v[6:7], s[60:61]                      // 00000000404C: D3B14006 18007906
	v_exp_f32_e32 v4, v4                                       // 000000004054: 7E084104
	v_exp_f32_e32 v5, v5                                       // 000000004058: 7E0A4105
	v_exp_f32_e32 v6, v6                                       // 00000000405C: 7E0C4106
	v_exp_f32_e32 v7, v7                                       // 000000004060: 7E0E4107
	v_add_f32_e64 v4, v4, 1.0                                  // 000000004064: D1010004 0001E504
	v_add_f32_e64 v5, v5, 1.0                                  // 00000000406C: D1010005 0001E505
	v_add_f32_e64 v6, v6, 1.0                                  // 000000004074: D1010006 0001E506
	v_add_f32_e64 v7, v7, 1.0                                  // 00000000407C: D1010007 0001E507
	v_rcp_f32_e32 v4, v4                                       // 000000004084: 7E084504
	v_rcp_f32_e32 v5, v5                                       // 000000004088: 7E0A4505
	v_rcp_f32_e32 v6, v6                                       // 00000000408C: 7E0C4506
	v_rcp_f32_e32 v7, v7                                       // 000000004090: 7E0E4507
	v_mul_f32_e32 v48, v48, v4                                 // 000000004094: 0A600930
	v_mul_f32_e32 v49, v49, v5                                 // 000000004098: 0A620B31
	v_mul_f32_e32 v50, v50, v6                                 // 00000000409C: 0A640D32
	v_mul_f32_e32 v51, v51, v7                                 // 0000000040A0: 0A660F33
	v_mul_f32_e32 v48, v48, v64                                // 0000000040A4: 0A608130
	v_mul_f32_e32 v49, v49, v65                                // 0000000040A8: 0A628331
	v_mul_f32_e32 v50, v50, v66                                // 0000000040AC: 0A648532
	v_mul_f32_e32 v51, v51, v67                                // 0000000040B0: 0A668733
	v_pk_mul_f32 v[4:5], v[52:53], v[52:53]                    // 0000000040B4: D3B14004 18026934
	v_pk_mul_f32 v[6:7], v[54:55], v[54:55]                    // 0000000040BC: D3B14006 18026D36
	v_pk_fma_f32 v[4:5], v[4:5], s[78:79], v[8:9]              // 0000000040C4: D3B04004 1C209D04
	v_pk_fma_f32 v[6:7], v[6:7], s[78:79], v[8:9]              // 0000000040CC: D3B04006 1C209D06
	v_pk_mul_f32 v[4:5], v[4:5], v[52:53]                      // 0000000040D4: D3B14004 18026904
	v_pk_mul_f32 v[6:7], v[6:7], v[54:55]                      // 0000000040DC: D3B14006 18026D06
	v_pk_mul_f32 v[4:5], v[4:5], s[60:61]                      // 0000000040E4: D3B14004 18007904
	v_pk_mul_f32 v[6:7], v[6:7], s[60:61]                      // 0000000040EC: D3B14006 18007906
	v_exp_f32_e32 v4, v4                                       // 0000000040F4: 7E084104
	v_exp_f32_e32 v5, v5                                       // 0000000040F8: 7E0A4105
	v_exp_f32_e32 v6, v6                                       // 0000000040FC: 7E0C4106
	v_exp_f32_e32 v7, v7                                       // 000000004100: 7E0E4107
	v_add_f32_e64 v4, v4, 1.0                                  // 000000004104: D1010004 0001E504
	v_add_f32_e64 v5, v5, 1.0                                  // 00000000410C: D1010005 0001E505
	v_add_f32_e64 v6, v6, 1.0                                  // 000000004114: D1010006 0001E506
	v_add_f32_e64 v7, v7, 1.0                                  // 00000000411C: D1010007 0001E507
	v_rcp_f32_e32 v4, v4                                       // 000000004124: 7E084504
	v_rcp_f32_e32 v5, v5                                       // 000000004128: 7E0A4505
	v_rcp_f32_e32 v6, v6                                       // 00000000412C: 7E0C4506
	v_rcp_f32_e32 v7, v7                                       // 000000004130: 7E0E4507
	v_mul_f32_e32 v52, v52, v4                                 // 000000004134: 0A680934
	v_mul_f32_e32 v53, v53, v5                                 // 000000004138: 0A6A0B35
	v_mul_f32_e32 v54, v54, v6                                 // 00000000413C: 0A6C0D36
	v_mul_f32_e32 v55, v55, v7                                 // 000000004140: 0A6E0F37
	v_mul_f32_e32 v52, v52, v68                                // 000000004144: 0A688934
	v_mul_f32_e32 v53, v53, v69                                // 000000004148: 0A6A8B35
	v_mul_f32_e32 v54, v54, v70                                // 00000000414C: 0A6C8D36
	v_mul_f32_e32 v55, v55, v71                                // 000000004150: 0A6E8F37
	s_branch label_0656                                        // 000000004154: BF820080

0000000000004158 <label_05D6>:
	v_mul_f32_e64 v4, -v40, s6                                 // 000000004158: D1050004 20000D28
	v_mul_f32_e64 v5, -v41, s6                                 // 000000004160: D1050005 20000D29
	v_mul_f32_e64 v6, -v42, s6                                 // 000000004168: D1050006 20000D2A
	v_mul_f32_e64 v7, -v43, s6                                 // 000000004170: D1050007 20000D2B
	v_exp_f32_e32 v4, v4                                       // 000000004178: 7E084104
	v_exp_f32_e32 v5, v5                                       // 00000000417C: 7E0A4105
	v_exp_f32_e32 v6, v6                                       // 000000004180: 7E0C4106
	v_exp_f32_e32 v7, v7                                       // 000000004184: 7E0E4107
	v_add_f32_e64 v4, v4, 1.0                                  // 000000004188: D1010004 0001E504
	v_add_f32_e64 v5, v5, 1.0                                  // 000000004190: D1010005 0001E505
	v_add_f32_e64 v6, v6, 1.0                                  // 000000004198: D1010006 0001E506
	v_add_f32_e64 v7, v7, 1.0                                  // 0000000041A0: D1010007 0001E507
	v_rcp_f32_e32 v4, v4                                       // 0000000041A8: 7E084504
	v_rcp_f32_e32 v5, v5                                       // 0000000041AC: 7E0A4505
	v_rcp_f32_e32 v6, v6                                       // 0000000041B0: 7E0C4506
	v_rcp_f32_e32 v7, v7                                       // 0000000041B4: 7E0E4507
	v_mul_f32_e32 v40, v40, v4                                 // 0000000041B8: 0A500928
	v_mul_f32_e32 v41, v41, v5                                 // 0000000041BC: 0A520B29
	v_mul_f32_e32 v42, v42, v6                                 // 0000000041C0: 0A540D2A
	v_mul_f32_e32 v43, v43, v7                                 // 0000000041C4: 0A560F2B
	v_mul_f32_e32 v40, v40, v56                                // 0000000041C8: 0A507128
	v_mul_f32_e32 v41, v41, v57                                // 0000000041CC: 0A527329
	v_mul_f32_e32 v42, v42, v58                                // 0000000041D0: 0A54752A
	v_mul_f32_e32 v43, v43, v59                                // 0000000041D4: 0A56772B
	v_mul_f32_e64 v4, -v44, s6                                 // 0000000041D8: D1050004 20000D2C
	v_mul_f32_e64 v5, -v45, s6                                 // 0000000041E0: D1050005 20000D2D
	v_mul_f32_e64 v6, -v46, s6                                 // 0000000041E8: D1050006 20000D2E
	v_mul_f32_e64 v7, -v47, s6                                 // 0000000041F0: D1050007 20000D2F
	v_exp_f32_e32 v4, v4                                       // 0000000041F8: 7E084104
	v_exp_f32_e32 v5, v5                                       // 0000000041FC: 7E0A4105
	v_exp_f32_e32 v6, v6                                       // 000000004200: 7E0C4106
	v_exp_f32_e32 v7, v7                                       // 000000004204: 7E0E4107
	v_add_f32_e64 v4, v4, 1.0                                  // 000000004208: D1010004 0001E504
	v_add_f32_e64 v5, v5, 1.0                                  // 000000004210: D1010005 0001E505
	v_add_f32_e64 v6, v6, 1.0                                  // 000000004218: D1010006 0001E506
	v_add_f32_e64 v7, v7, 1.0                                  // 000000004220: D1010007 0001E507
	v_rcp_f32_e32 v4, v4                                       // 000000004228: 7E084504
	v_rcp_f32_e32 v5, v5                                       // 00000000422C: 7E0A4505
	v_rcp_f32_e32 v6, v6                                       // 000000004230: 7E0C4506
	v_rcp_f32_e32 v7, v7                                       // 000000004234: 7E0E4507
	v_mul_f32_e32 v44, v44, v4                                 // 000000004238: 0A58092C
	v_mul_f32_e32 v45, v45, v5                                 // 00000000423C: 0A5A0B2D
	v_mul_f32_e32 v46, v46, v6                                 // 000000004240: 0A5C0D2E
	v_mul_f32_e32 v47, v47, v7                                 // 000000004244: 0A5E0F2F
	v_mul_f32_e32 v44, v44, v60                                // 000000004248: 0A58792C
	v_mul_f32_e32 v45, v45, v61                                // 00000000424C: 0A5A7B2D
	v_mul_f32_e32 v46, v46, v62                                // 000000004250: 0A5C7D2E
	v_mul_f32_e32 v47, v47, v63                                // 000000004254: 0A5E7F2F
	v_mul_f32_e64 v4, -v48, s6                                 // 000000004258: D1050004 20000D30
	v_mul_f32_e64 v5, -v49, s6                                 // 000000004260: D1050005 20000D31
	v_mul_f32_e64 v6, -v50, s6                                 // 000000004268: D1050006 20000D32
	v_mul_f32_e64 v7, -v51, s6                                 // 000000004270: D1050007 20000D33
	v_exp_f32_e32 v4, v4                                       // 000000004278: 7E084104
	v_exp_f32_e32 v5, v5                                       // 00000000427C: 7E0A4105
	v_exp_f32_e32 v6, v6                                       // 000000004280: 7E0C4106
	v_exp_f32_e32 v7, v7                                       // 000000004284: 7E0E4107
	v_add_f32_e64 v4, v4, 1.0                                  // 000000004288: D1010004 0001E504
	v_add_f32_e64 v5, v5, 1.0                                  // 000000004290: D1010005 0001E505
	v_add_f32_e64 v6, v6, 1.0                                  // 000000004298: D1010006 0001E506
	v_add_f32_e64 v7, v7, 1.0                                  // 0000000042A0: D1010007 0001E507
	v_rcp_f32_e32 v4, v4                                       // 0000000042A8: 7E084504
	v_rcp_f32_e32 v5, v5                                       // 0000000042AC: 7E0A4505
	v_rcp_f32_e32 v6, v6                                       // 0000000042B0: 7E0C4506
	v_rcp_f32_e32 v7, v7                                       // 0000000042B4: 7E0E4507
	v_mul_f32_e32 v48, v48, v4                                 // 0000000042B8: 0A600930
	v_mul_f32_e32 v49, v49, v5                                 // 0000000042BC: 0A620B31
	v_mul_f32_e32 v50, v50, v6                                 // 0000000042C0: 0A640D32
	v_mul_f32_e32 v51, v51, v7                                 // 0000000042C4: 0A660F33
	v_mul_f32_e32 v48, v48, v64                                // 0000000042C8: 0A608130
	v_mul_f32_e32 v49, v49, v65                                // 0000000042CC: 0A628331
	v_mul_f32_e32 v50, v50, v66                                // 0000000042D0: 0A648532
	v_mul_f32_e32 v51, v51, v67                                // 0000000042D4: 0A668733
	v_mul_f32_e64 v4, -v52, s6                                 // 0000000042D8: D1050004 20000D34
	v_mul_f32_e64 v5, -v53, s6                                 // 0000000042E0: D1050005 20000D35
	v_mul_f32_e64 v6, -v54, s6                                 // 0000000042E8: D1050006 20000D36
	v_mul_f32_e64 v7, -v55, s6                                 // 0000000042F0: D1050007 20000D37
	v_exp_f32_e32 v4, v4                                       // 0000000042F8: 7E084104
	v_exp_f32_e32 v5, v5                                       // 0000000042FC: 7E0A4105
	v_exp_f32_e32 v6, v6                                       // 000000004300: 7E0C4106
	v_exp_f32_e32 v7, v7                                       // 000000004304: 7E0E4107
	v_add_f32_e64 v4, v4, 1.0                                  // 000000004308: D1010004 0001E504
	v_add_f32_e64 v5, v5, 1.0                                  // 000000004310: D1010005 0001E505
	v_add_f32_e64 v6, v6, 1.0                                  // 000000004318: D1010006 0001E506
	v_add_f32_e64 v7, v7, 1.0                                  // 000000004320: D1010007 0001E507
	v_rcp_f32_e32 v4, v4                                       // 000000004328: 7E084504
	v_rcp_f32_e32 v5, v5                                       // 00000000432C: 7E0A4505
	v_rcp_f32_e32 v6, v6                                       // 000000004330: 7E0C4506
	v_rcp_f32_e32 v7, v7                                       // 000000004334: 7E0E4507
	v_mul_f32_e32 v52, v52, v4                                 // 000000004338: 0A680934
	v_mul_f32_e32 v53, v53, v5                                 // 00000000433C: 0A6A0B35
	v_mul_f32_e32 v54, v54, v6                                 // 000000004340: 0A6C0D36
	v_mul_f32_e32 v55, v55, v7                                 // 000000004344: 0A6E0F37
	v_mul_f32_e32 v52, v52, v68                                // 000000004348: 0A688934
	v_mul_f32_e32 v53, v53, v69                                // 00000000434C: 0A6A8B35
	v_mul_f32_e32 v54, v54, v70                                // 000000004350: 0A6C8D36
	v_mul_f32_e32 v55, v55, v71                                // 000000004354: 0A6E8F37

0000000000004358 <label_0656>:
	v_cmp_u_f32_e64 s[46:47], v40, v40                         // 000000004358: D048002E 00025128
	v_add3_u32 v16, v40, v19, 1                                // 000000004360: D1FF0010 02062728
	v_cndmask_b32_e64 v4, v16, v18, s[46:47]                   // 000000004368: D1000004 00BA2510
	v_cmp_u_f32_e64 s[46:47], v41, v41                         // 000000004370: D048002E 00025329
	v_add3_u32 v16, v41, v19, 1                                // 000000004378: D1FF0010 02062729
	v_cndmask_b32_e64 v5, v16, v18, s[46:47]                   // 000000004380: D1000005 00BA2510
	v_perm_b32 v40, v5, v4, s52                                // 000000004388: D1ED0028 00D20905
	v_cmp_u_f32_e64 s[46:47], v42, v42                         // 000000004390: D048002E 0002552A
	v_add3_u32 v16, v42, v19, 1                                // 000000004398: D1FF0010 0206272A
	v_cndmask_b32_e64 v4, v16, v18, s[46:47]                   // 0000000043A0: D1000004 00BA2510
	v_cmp_u_f32_e64 s[46:47], v43, v43                         // 0000000043A8: D048002E 0002572B
	v_add3_u32 v16, v43, v19, 1                                // 0000000043B0: D1FF0010 0206272B
	v_cndmask_b32_e64 v5, v16, v18, s[46:47]                   // 0000000043B8: D1000005 00BA2510
	v_perm_b32 v41, v5, v4, s52                                // 0000000043C0: D1ED0029 00D20905
	v_cmp_u_f32_e64 s[46:47], v44, v44                         // 0000000043C8: D048002E 0002592C
	v_add3_u32 v16, v44, v19, 1                                // 0000000043D0: D1FF0010 0206272C
	v_cndmask_b32_e64 v4, v16, v18, s[46:47]                   // 0000000043D8: D1000004 00BA2510
	v_cmp_u_f32_e64 s[46:47], v45, v45                         // 0000000043E0: D048002E 00025B2D
	v_add3_u32 v16, v45, v19, 1                                // 0000000043E8: D1FF0010 0206272D
	v_cndmask_b32_e64 v5, v16, v18, s[46:47]                   // 0000000043F0: D1000005 00BA2510
	v_perm_b32 v42, v5, v4, s52                                // 0000000043F8: D1ED002A 00D20905
	v_cmp_u_f32_e64 s[46:47], v46, v46                         // 000000004400: D048002E 00025D2E
	v_add3_u32 v16, v46, v19, 1                                // 000000004408: D1FF0010 0206272E
	v_cndmask_b32_e64 v4, v16, v18, s[46:47]                   // 000000004410: D1000004 00BA2510
	v_cmp_u_f32_e64 s[46:47], v47, v47                         // 000000004418: D048002E 00025F2F
	v_add3_u32 v16, v47, v19, 1                                // 000000004420: D1FF0010 0206272F
	v_cndmask_b32_e64 v5, v16, v18, s[46:47]                   // 000000004428: D1000005 00BA2510
	v_perm_b32 v43, v5, v4, s52                                // 000000004430: D1ED002B 00D20905
	v_cmp_u_f32_e64 s[46:47], v48, v48                         // 000000004438: D048002E 00026130
	v_add3_u32 v16, v48, v19, 1                                // 000000004440: D1FF0010 02062730
	v_cndmask_b32_e64 v4, v16, v18, s[46:47]                   // 000000004448: D1000004 00BA2510
	v_cmp_u_f32_e64 s[46:47], v49, v49                         // 000000004450: D048002E 00026331
	v_add3_u32 v16, v49, v19, 1                                // 000000004458: D1FF0010 02062731
	v_cndmask_b32_e64 v5, v16, v18, s[46:47]                   // 000000004460: D1000005 00BA2510
	v_perm_b32 v44, v5, v4, s52                                // 000000004468: D1ED002C 00D20905
	v_cmp_u_f32_e64 s[46:47], v50, v50                         // 000000004470: D048002E 00026532
	v_add3_u32 v16, v50, v19, 1                                // 000000004478: D1FF0010 02062732
	v_cndmask_b32_e64 v4, v16, v18, s[46:47]                   // 000000004480: D1000004 00BA2510
	v_cmp_u_f32_e64 s[46:47], v51, v51                         // 000000004488: D048002E 00026733
	v_add3_u32 v16, v51, v19, 1                                // 000000004490: D1FF0010 02062733
	v_cndmask_b32_e64 v5, v16, v18, s[46:47]                   // 000000004498: D1000005 00BA2510
	v_perm_b32 v45, v5, v4, s52                                // 0000000044A0: D1ED002D 00D20905
	v_cmp_u_f32_e64 s[46:47], v52, v52                         // 0000000044A8: D048002E 00026934
	v_add3_u32 v16, v52, v19, 1                                // 0000000044B0: D1FF0010 02062734
	v_cndmask_b32_e64 v4, v16, v18, s[46:47]                   // 0000000044B8: D1000004 00BA2510
	v_cmp_u_f32_e64 s[46:47], v53, v53                         // 0000000044C0: D048002E 00026B35
	v_add3_u32 v16, v53, v19, 1                                // 0000000044C8: D1FF0010 02062735
	v_cndmask_b32_e64 v5, v16, v18, s[46:47]                   // 0000000044D0: D1000005 00BA2510
	v_perm_b32 v46, v5, v4, s52                                // 0000000044D8: D1ED002E 00D20905
	v_cmp_u_f32_e64 s[46:47], v54, v54                         // 0000000044E0: D048002E 00026D36
	v_add3_u32 v16, v54, v19, 1                                // 0000000044E8: D1FF0010 02062736
	v_cndmask_b32_e64 v4, v16, v18, s[46:47]                   // 0000000044F0: D1000004 00BA2510
	v_cmp_u_f32_e64 s[46:47], v55, v55                         // 0000000044F8: D048002E 00026F37
	v_add3_u32 v16, v55, v19, 1                                // 000000004500: D1FF0010 02062737
	v_cndmask_b32_e64 v5, v16, v18, s[46:47]                   // 000000004508: D1000005 00BA2510
	v_perm_b32 v47, v5, v4, s52                                // 000000004510: D1ED002F 00D20905
	ds_write_b64 v20, v[40:41]                                 // 000000004518: D89A0000 00002814
	ds_write_b64 v20, v[42:43] offset:2176                     // 000000004520: D89A0880 00002A14
	ds_write_b64 v20, v[44:45] offset:4352                     // 000000004528: D89A1100 00002C14
	ds_write_b64 v20, v[46:47] offset:6528                     // 000000004530: D89A1980 00002E14
	v_lshrrev_b32_e32 v4, 5, v0                                // 000000004538: 20080085
	v_xor_b32_e32 v5, 1, v4                                    // 00000000453C: 2A0A0881
	s_mul_i32 s60, s65, 2                                      // 000000004540: 923C8241
	s_cmp_eq_u32 s88, 0                                        // 000000004544: BF068058
	s_cselect_b32 s61, 1, 4                                    // 000000004548: 853D8481
	s_mul_i32 s60, s61, s60                                    // 00000000454C: 923C3C3D
	v_readlane_b32 s82, v3, 0                                  // 000000004550: D2890052 00010103
	s_lshr_b32 s61, s82, 24                                    // 000000004558: 8F3D9852
	s_and_b32 s82, s82, 0xffffff                               // 00000000455C: 8652FF52 00FFFFFF
	s_mul_i32 s82, s82, s71                                    // 000000004564: 92524752
	s_mul_i32 s61, s60, s61                                    // 000000004568: 923D3D3C
	s_add_u32 s82, s82, s61                                    // 00000000456C: 80523D52
	v_mul_lo_u32 v6, v5, s82                                   // 000000004570: D2850006 0000A505
	v_readlane_b32 s82, v3, 1                                  // 000000004578: D2890052 00010303
	s_lshr_b32 s61, s82, 24                                    // 000000004580: 8F3D9852
	s_and_b32 s82, s82, 0xffffff                               // 000000004584: 8652FF52 00FFFFFF
	s_mul_i32 s82, s82, s71                                    // 00000000458C: 92524752
	s_mul_i32 s61, s60, s61                                    // 000000004590: 923D3D3C
	s_add_u32 s82, s82, s61                                    // 000000004594: 80523D52
	v_mul_lo_u32 v7, v4, s82                                   // 000000004598: D2850007 0000A504
	v_add_u32_e32 v34, v6, v7                                  // 0000000045A0: 68440F06
	v_readlane_b32 s82, v3, 2                                  // 0000000045A4: D2890052 00010503
	s_lshr_b32 s61, s82, 24                                    // 0000000045AC: 8F3D9852
	s_and_b32 s82, s82, 0xffffff                               // 0000000045B0: 8652FF52 00FFFFFF
	s_mul_i32 s82, s82, s71                                    // 0000000045B8: 92524752
	s_mul_i32 s61, s60, s61                                    // 0000000045BC: 923D3D3C
	s_add_u32 s82, s82, s61                                    // 0000000045C0: 80523D52
	v_mul_lo_u32 v6, v5, s82                                   // 0000000045C4: D2850006 0000A505
	v_readlane_b32 s82, v3, 3                                  // 0000000045CC: D2890052 00010703
	s_lshr_b32 s61, s82, 24                                    // 0000000045D4: 8F3D9852
	s_and_b32 s82, s82, 0xffffff                               // 0000000045D8: 8652FF52 00FFFFFF
	s_mul_i32 s82, s82, s71                                    // 0000000045E0: 92524752
	s_mul_i32 s61, s60, s61                                    // 0000000045E4: 923D3D3C
	s_add_u32 s82, s82, s61                                    // 0000000045E8: 80523D52
	v_mul_lo_u32 v7, v4, s82                                   // 0000000045EC: D2850007 0000A504
	v_add_u32_e32 v35, v6, v7                                  // 0000000045F4: 68460F06
	v_and_b32_e32 v4, 31, v0                                   // 0000000045F8: 2608009F
	v_lshrrev_b32_e32 v4, 1, v4                                // 0000000045FC: 20080881
	s_cmp_eq_u32 s88, 0                                        // 000000004600: BF068058
	s_cselect_b32 s61, 2, 4                                    // 000000004604: 853D8482
	v_mul_lo_u32 v4, v4, s61                                   // 000000004608: D2850004 00007B04
	v_and_b32_e64 v5, v0, 1                                    // 000000004610: D1130005 00010300
	v_add_u32_e32 v4, v4, v5                                   // 000000004618: 68080B04
	v_lshlrev_b32_e32 v4, 2, v4                                // 00000000461C: 24080882
	v_add_u32_e32 v34, v34, v4                                 // 000000004620: 68440922
	v_add_u32_e32 v35, v35, v4                                 // 000000004624: 68460923
	s_waitcnt lgkmcnt(0)                                       // 000000004628: BF8CC07F
	s_barrier                                                  // 00000000462C: BF8A0000
	ds_read_b32 v40, v21                                       // 000000004630: D86C0000 28000015
	ds_read_b32 v41, v21 offset:64                             // 000000004638: D86C0040 29000015
	ds_read_b32 v42, v21 offset:2176                           // 000000004640: D86C0880 2A000015
	ds_read_b32 v43, v21 offset:2240                           // 000000004648: D86C08C0 2B000015
	ds_read_b32 v44, v21 offset:4352                           // 000000004650: D86C1100 2C000015
	ds_read_b32 v45, v21 offset:4416                           // 000000004658: D86C1140 2D000015
	ds_read_b32 v46, v21 offset:6528                           // 000000004660: D86C1980 2E000015
	ds_read_b32 v47, v21 offset:6592                           // 000000004668: D86C19C0 2F000015
	s_waitcnt lgkmcnt(0)                                       // 000000004670: BF8CC07F
	s_mov_b32 s36, -1                                          // 000000004674: BEA400C1
	s_mov_b32 s37, -1                                          // 000000004678: BEA500C1
	v_mov_b32_e32 v7, 0                                        // 00000000467C: 7E0E0280
	s_or_b32 s9, s9, 0x40000                                   // 000000004680: 8709FF09 00040000
	s_mov_b64 exec, s[36:37]                                   // 000000004688: BEFE0124
	v_mov_b32_e32 v6, v34                                      // 00000000468C: 7E0C0322
	s_mov_b64 s[60:61], 0                                      // 000000004690: BEBC0180
	v_readlane_b32 s82, v3, 0                                  // 000000004694: D2890052 00010103
	s_and_b32 s82, s82, 0xffffff                               // 00000000469C: 8652FF52 00FFFFFF
	s_cmp_lt_u32 s82, s66                                      // 0000000046A4: BF0A4252
	s_cselect_b32 s20, s36, s60                                // 0000000046A8: 85143C24
	v_readlane_b32 s82, v3, 1                                  // 0000000046AC: D2890052 00010303
	s_and_b32 s82, s82, 0xffffff                               // 0000000046B4: 8652FF52 00FFFFFF
	s_cmp_lt_u32 s82, s66                                      // 0000000046BC: BF0A4252
	s_cselect_b32 s21, s36, s60                                // 0000000046C0: 85153C24
	s_mov_b64 exec, s[20:21]                                   // 0000000046C4: BEFE0114
	buffer_store_dword v40, v6, s[8:11], 0 offen               // 0000000046C8: E0701000 80022806
	buffer_store_dword v42, v6, s[8:11], 0 offen offset:128    // 0000000046D0: E0701080 80022A06
	buffer_store_dword v44, v6, s[8:11], 0 offen offset:256    // 0000000046D8: E0701100 80022C06
	buffer_store_dword v46, v6, s[8:11], 0 offen offset:384    // 0000000046E0: E0701180 80022E06
	s_mov_b64 exec, s[36:37]                                   // 0000000046E8: BEFE0124
	v_mov_b32_e32 v6, v35                                      // 0000000046EC: 7E0C0323
	s_mov_b64 s[60:61], 0                                      // 0000000046F0: BEBC0180
	v_readlane_b32 s82, v3, 2                                  // 0000000046F4: D2890052 00010503
	s_and_b32 s82, s82, 0xffffff                               // 0000000046FC: 8652FF52 00FFFFFF
	s_cmp_lt_u32 s82, s66                                      // 000000004704: BF0A4252
	s_cselect_b32 s20, s36, s60                                // 000000004708: 85143C24
	v_readlane_b32 s82, v3, 3                                  // 00000000470C: D2890052 00010703
	s_and_b32 s82, s82, 0xffffff                               // 000000004714: 8652FF52 00FFFFFF
	s_cmp_lt_u32 s82, s66                                      // 00000000471C: BF0A4252
	s_cselect_b32 s21, s36, s60                                // 000000004720: 85153C24
	s_mov_b64 exec, s[20:21]                                   // 000000004724: BEFE0114
	buffer_store_dword v41, v6, s[8:11], 0 offen               // 000000004728: E0701000 80022906
	buffer_store_dword v43, v6, s[8:11], 0 offen offset:128    // 000000004730: E0701080 80022B06
	buffer_store_dword v45, v6, s[8:11], 0 offen offset:256    // 000000004738: E0701100 80022D06
	buffer_store_dword v47, v6, s[8:11], 0 offen offset:384    // 000000004740: E0701180 80022F06
	s_mov_b64 exec, s[36:37]                                   // 000000004748: BEFE0124
	s_branch label_0FE0                                        // 00000000474C: BF820889

0000000000004750 <label_0754>:
	ds_write_b64 v20, v[40:41]                                 // 000000004750: D89A0000 00002814
	ds_write_b64 v20, v[44:45] offset:2176                     // 000000004758: D89A0880 00002C14
	ds_write_b64 v20, v[48:49] offset:4352                     // 000000004760: D89A1100 00003014
	ds_write_b64 v20, v[52:53] offset:6528                     // 000000004768: D89A1980 00003414
	v_lshrrev_b32_e32 v4, 5, v0                                // 000000004770: 20080085
	v_xor_b32_e32 v5, 1, v4                                    // 000000004774: 2A0A0881
	s_mul_i32 s60, s65, 2                                      // 000000004778: 923C8241
	s_cmp_eq_u32 s88, 0                                        // 00000000477C: BF068058
	s_cselect_b32 s61, 1, 4                                    // 000000004780: 853D8481
	s_mul_i32 s60, s61, s60                                    // 000000004784: 923C3C3D
	v_readlane_b32 s82, v3, 0                                  // 000000004788: D2890052 00010103
	s_lshr_b32 s61, s82, 24                                    // 000000004790: 8F3D9852
	s_and_b32 s82, s82, 0xffffff                               // 000000004794: 8652FF52 00FFFFFF
	s_mul_i32 s82, s82, s71                                    // 00000000479C: 92524752
	s_mul_i32 s61, s60, s61                                    // 0000000047A0: 923D3D3C
	s_add_u32 s82, s82, s61                                    // 0000000047A4: 80523D52
	v_mul_lo_u32 v6, v5, s82                                   // 0000000047A8: D2850006 0000A505
	v_readlane_b32 s82, v3, 1                                  // 0000000047B0: D2890052 00010303
	s_lshr_b32 s61, s82, 24                                    // 0000000047B8: 8F3D9852
	s_and_b32 s82, s82, 0xffffff                               // 0000000047BC: 8652FF52 00FFFFFF
	s_mul_i32 s82, s82, s71                                    // 0000000047C4: 92524752
	s_mul_i32 s61, s60, s61                                    // 0000000047C8: 923D3D3C
	s_add_u32 s82, s82, s61                                    // 0000000047CC: 80523D52
	v_mul_lo_u32 v7, v4, s82                                   // 0000000047D0: D2850007 0000A504
	v_add_u32_e32 v34, v6, v7                                  // 0000000047D8: 68440F06
	v_readlane_b32 s82, v3, 2                                  // 0000000047DC: D2890052 00010503
	s_lshr_b32 s61, s82, 24                                    // 0000000047E4: 8F3D9852
	s_and_b32 s82, s82, 0xffffff                               // 0000000047E8: 8652FF52 00FFFFFF
	s_mul_i32 s82, s82, s71                                    // 0000000047F0: 92524752
	s_mul_i32 s61, s60, s61                                    // 0000000047F4: 923D3D3C
	s_add_u32 s82, s82, s61                                    // 0000000047F8: 80523D52
	v_mul_lo_u32 v6, v5, s82                                   // 0000000047FC: D2850006 0000A505
	v_readlane_b32 s82, v3, 3                                  // 000000004804: D2890052 00010703
	s_lshr_b32 s61, s82, 24                                    // 00000000480C: 8F3D9852
	s_and_b32 s82, s82, 0xffffff                               // 000000004810: 8652FF52 00FFFFFF
	s_mul_i32 s82, s82, s71                                    // 000000004818: 92524752
	s_mul_i32 s61, s60, s61                                    // 00000000481C: 923D3D3C
	s_add_u32 s82, s82, s61                                    // 000000004820: 80523D52
	v_mul_lo_u32 v7, v4, s82                                   // 000000004824: D2850007 0000A504
	v_add_u32_e32 v35, v6, v7                                  // 00000000482C: 68460F06
	v_and_b32_e32 v4, 31, v0                                   // 000000004830: 2608009F
	v_lshrrev_b32_e32 v4, 1, v4                                // 000000004834: 20080881
	s_cmp_eq_u32 s88, 0                                        // 000000004838: BF068058
	s_cselect_b32 s61, 2, 4                                    // 00000000483C: 853D8482
	v_mul_lo_u32 v4, v4, s61                                   // 000000004840: D2850004 00007B04
	v_and_b32_e64 v5, v0, 1                                    // 000000004848: D1130005 00010300
	v_add_u32_e32 v4, v4, v5                                   // 000000004850: 68080B04
	v_lshlrev_b32_e32 v4, 2, v4                                // 000000004854: 24080882
	v_add_u32_e32 v34, v34, v4                                 // 000000004858: 68440922
	v_add_u32_e32 v35, v35, v4                                 // 00000000485C: 68460923
	s_waitcnt lgkmcnt(0)                                       // 000000004860: BF8CC07F
	s_barrier                                                  // 000000004864: BF8A0000
	ds_read_b32 v40, v21                                       // 000000004868: D86C0000 28000015
	ds_read_b32 v41, v21 offset:64                             // 000000004870: D86C0040 29000015
	ds_read_b32 v44, v21 offset:2176                           // 000000004878: D86C0880 2C000015
	ds_read_b32 v45, v21 offset:2240                           // 000000004880: D86C08C0 2D000015
	ds_read_b32 v48, v21 offset:4352                           // 000000004888: D86C1100 30000015
	ds_read_b32 v49, v21 offset:4416                           // 000000004890: D86C1140 31000015
	ds_read_b32 v52, v21 offset:6528                           // 000000004898: D86C1980 34000015
	ds_read_b32 v53, v21 offset:6592                           // 0000000048A0: D86C19C0 35000015
	s_waitcnt lgkmcnt(0)                                       // 0000000048A8: BF8CC07F
	s_mov_b32 s36, -1                                          // 0000000048AC: BEA400C1
	s_mov_b32 s37, -1                                          // 0000000048B0: BEA500C1
	v_mov_b32_e32 v7, 0                                        // 0000000048B4: 7E0E0280
	s_mov_b64 exec, s[36:37]                                   // 0000000048B8: BEFE0124
	v_mov_b32_e32 v6, v34                                      // 0000000048BC: 7E0C0322
	s_mov_b64 s[60:61], 0                                      // 0000000048C0: BEBC0180
	v_readlane_b32 s82, v3, 0                                  // 0000000048C4: D2890052 00010103
	s_and_b32 s82, s82, 0xffffff                               // 0000000048CC: 8652FF52 00FFFFFF
	s_cmp_lt_u32 s82, s66                                      // 0000000048D4: BF0A4252
	s_cselect_b32 s20, s36, s60                                // 0000000048D8: 85143C24
	v_readlane_b32 s82, v3, 1                                  // 0000000048DC: D2890052 00010303
	s_and_b32 s82, s82, 0xffffff                               // 0000000048E4: 8652FF52 00FFFFFF
	s_cmp_lt_u32 s82, s66                                      // 0000000048EC: BF0A4252
	s_cselect_b32 s21, s36, s60                                // 0000000048F0: 85153C24
	s_mov_b64 exec, s[20:21]                                   // 0000000048F4: BEFE0114
	global_atomic_add_f32 v6, v40, s[8:9]                      // 0000000048F8: DD348000 00082806
	global_atomic_add_f32 v6, v44, s[8:9] offset:256           // 000000004900: DD348100 00082C06
	global_atomic_add_f32 v6, v48, s[8:9] offset:512           // 000000004908: DD348200 00083006
	global_atomic_add_f32 v6, v52, s[8:9] offset:768           // 000000004910: DD348300 00083406
	s_mov_b64 exec, s[36:37]                                   // 000000004918: BEFE0124
	v_mov_b32_e32 v6, v35                                      // 00000000491C: 7E0C0323
	s_mov_b64 s[60:61], 0                                      // 000000004920: BEBC0180
	v_readlane_b32 s82, v3, 2                                  // 000000004924: D2890052 00010503
	s_and_b32 s82, s82, 0xffffff                               // 00000000492C: 8652FF52 00FFFFFF
	s_cmp_lt_u32 s82, s66                                      // 000000004934: BF0A4252
	s_cselect_b32 s20, s36, s60                                // 000000004938: 85143C24
	v_readlane_b32 s82, v3, 3                                  // 00000000493C: D2890052 00010703
	s_and_b32 s82, s82, 0xffffff                               // 000000004944: 8652FF52 00FFFFFF
	s_cmp_lt_u32 s82, s66                                      // 00000000494C: BF0A4252
	s_cselect_b32 s21, s36, s60                                // 000000004950: 85153C24
	s_mov_b64 exec, s[20:21]                                   // 000000004954: BEFE0114
	global_atomic_add_f32 v6, v41, s[8:9]                      // 000000004958: DD348000 00082906
	global_atomic_add_f32 v6, v45, s[8:9] offset:256           // 000000004960: DD348100 00082D06
	global_atomic_add_f32 v6, v49, s[8:9] offset:512           // 000000004968: DD348200 00083106
	global_atomic_add_f32 v6, v53, s[8:9] offset:768           // 000000004970: DD348300 00083506
	s_mov_b64 exec, s[36:37]                                   // 000000004978: BEFE0124
	ds_write_b64 v20, v[42:43]                                 // 00000000497C: D89A0000 00002A14
	ds_write_b64 v20, v[46:47] offset:2176                     // 000000004984: D89A0880 00002E14
	ds_write_b64 v20, v[50:51] offset:4352                     // 00000000498C: D89A1100 00003214
	ds_write_b64 v20, v[54:55] offset:6528                     // 000000004994: D89A1980 00003614
	s_waitcnt lgkmcnt(0)                                       // 00000000499C: BF8CC07F
	s_barrier                                                  // 0000000049A0: BF8A0000
	ds_read_b32 v42, v21                                       // 0000000049A4: D86C0000 2A000015
	ds_read_b32 v43, v21 offset:64                             // 0000000049AC: D86C0040 2B000015
	ds_read_b32 v46, v21 offset:2176                           // 0000000049B4: D86C0880 2E000015
	ds_read_b32 v47, v21 offset:2240                           // 0000000049BC: D86C08C0 2F000015
	ds_read_b32 v50, v21 offset:4352                           // 0000000049C4: D86C1100 32000015
	ds_read_b32 v51, v21 offset:4416                           // 0000000049CC: D86C1140 33000015
	ds_read_b32 v54, v21 offset:6528                           // 0000000049D4: D86C1980 36000015
	ds_read_b32 v55, v21 offset:6592                           // 0000000049DC: D86C19C0 37000015
	s_waitcnt lgkmcnt(0)                                       // 0000000049E4: BF8CC07F
	v_mov_b32_e32 v7, 0                                        // 0000000049E8: 7E0E0280
	s_mov_b64 exec, s[36:37]                                   // 0000000049EC: BEFE0124
	v_mov_b32_e32 v6, v34                                      // 0000000049F0: 7E0C0322
	s_mov_b64 s[60:61], 0                                      // 0000000049F4: BEBC0180
	v_readlane_b32 s82, v3, 0                                  // 0000000049F8: D2890052 00010103
	s_and_b32 s82, s82, 0xffffff                               // 000000004A00: 8652FF52 00FFFFFF
	s_cmp_lt_u32 s82, s66                                      // 000000004A08: BF0A4252
	s_cselect_b32 s20, s36, s60                                // 000000004A0C: 85143C24
	v_readlane_b32 s82, v3, 1                                  // 000000004A10: D2890052 00010303
	s_and_b32 s82, s82, 0xffffff                               // 000000004A18: 8652FF52 00FFFFFF
	s_cmp_lt_u32 s82, s66                                      // 000000004A20: BF0A4252
	s_cselect_b32 s21, s36, s60                                // 000000004A24: 85153C24
	s_mov_b64 exec, s[20:21]                                   // 000000004A28: BEFE0114
	global_atomic_add_f32 v6, v42, s[8:9] offset:8             // 000000004A2C: DD348008 00082A06
	global_atomic_add_f32 v6, v46, s[8:9] offset:264           // 000000004A34: DD348108 00082E06
	global_atomic_add_f32 v6, v50, s[8:9] offset:520           // 000000004A3C: DD348208 00083206
	global_atomic_add_f32 v6, v54, s[8:9] offset:776           // 000000004A44: DD348308 00083606
	s_mov_b64 exec, s[36:37]                                   // 000000004A4C: BEFE0124
	v_mov_b32_e32 v6, v35                                      // 000000004A50: 7E0C0323
	s_mov_b64 s[60:61], 0                                      // 000000004A54: BEBC0180
	v_readlane_b32 s82, v3, 2                                  // 000000004A58: D2890052 00010503
	s_and_b32 s82, s82, 0xffffff                               // 000000004A60: 8652FF52 00FFFFFF
	s_cmp_lt_u32 s82, s66                                      // 000000004A68: BF0A4252
	s_cselect_b32 s20, s36, s60                                // 000000004A6C: 85143C24
	v_readlane_b32 s82, v3, 3                                  // 000000004A70: D2890052 00010703
	s_and_b32 s82, s82, 0xffffff                               // 000000004A78: 8652FF52 00FFFFFF
	s_cmp_lt_u32 s82, s66                                      // 000000004A80: BF0A4252
	s_cselect_b32 s21, s36, s60                                // 000000004A84: 85153C24
	s_mov_b64 exec, s[20:21]                                   // 000000004A88: BEFE0114
	global_atomic_add_f32 v6, v43, s[8:9] offset:8             // 000000004A8C: DD348008 00082B06
	global_atomic_add_f32 v6, v47, s[8:9] offset:264           // 000000004A94: DD348108 00082F06
	global_atomic_add_f32 v6, v51, s[8:9] offset:520           // 000000004A9C: DD348208 00083306
	global_atomic_add_f32 v6, v55, s[8:9] offset:776           // 000000004AA4: DD348308 00083706
	s_mov_b64 exec, s[36:37]                                   // 000000004AAC: BEFE0124
	ds_write_b64 v20, v[56:57]                                 // 000000004AB0: D89A0000 00003814
	ds_write_b64 v20, v[60:61] offset:2176                     // 000000004AB8: D89A0880 00003C14
	ds_write_b64 v20, v[64:65] offset:4352                     // 000000004AC0: D89A1100 00004014
	ds_write_b64 v20, v[68:69] offset:6528                     // 000000004AC8: D89A1980 00004414
	s_waitcnt lgkmcnt(0)                                       // 000000004AD0: BF8CC07F
	s_barrier                                                  // 000000004AD4: BF8A0000
	ds_read_b32 v56, v21                                       // 000000004AD8: D86C0000 38000015
	ds_read_b32 v57, v21 offset:64                             // 000000004AE0: D86C0040 39000015
	ds_read_b32 v60, v21 offset:2176                           // 000000004AE8: D86C0880 3C000015
	ds_read_b32 v61, v21 offset:2240                           // 000000004AF0: D86C08C0 3D000015
	ds_read_b32 v64, v21 offset:4352                           // 000000004AF8: D86C1100 40000015
	ds_read_b32 v65, v21 offset:4416                           // 000000004B00: D86C1140 41000015
	ds_read_b32 v68, v21 offset:6528                           // 000000004B08: D86C1980 44000015
	ds_read_b32 v69, v21 offset:6592                           // 000000004B10: D86C19C0 45000015
	s_mul_i32 s60, s65, 4                                      // 000000004B18: 923C8441
	s_add_u32 s8, s60, s8                                      // 000000004B1C: 8008083C
	s_addc_u32 s9, 0, s9                                       // 000000004B20: 82090980
	s_waitcnt lgkmcnt(0)                                       // 000000004B24: BF8CC07F
	v_mov_b32_e32 v7, 0                                        // 000000004B28: 7E0E0280
	s_mov_b64 exec, s[36:37]                                   // 000000004B2C: BEFE0124
	v_mov_b32_e32 v6, v34                                      // 000000004B30: 7E0C0322
	s_mov_b64 s[60:61], 0                                      // 000000004B34: BEBC0180
	v_readlane_b32 s82, v3, 0                                  // 000000004B38: D2890052 00010103
	s_and_b32 s82, s82, 0xffffff                               // 000000004B40: 8652FF52 00FFFFFF
	s_cmp_lt_u32 s82, s66                                      // 000000004B48: BF0A4252
	s_cselect_b32 s20, s36, s60                                // 000000004B4C: 85143C24
	v_readlane_b32 s82, v3, 1                                  // 000000004B50: D2890052 00010303
	s_and_b32 s82, s82, 0xffffff                               // 000000004B58: 8652FF52 00FFFFFF
	s_cmp_lt_u32 s82, s66                                      // 000000004B60: BF0A4252
	s_cselect_b32 s21, s36, s60                                // 000000004B64: 85153C24
	s_mov_b64 exec, s[20:21]                                   // 000000004B68: BEFE0114
	global_atomic_add_f32 v6, v56, s[8:9]                      // 000000004B6C: DD348000 00083806
	global_atomic_add_f32 v6, v60, s[8:9] offset:256           // 000000004B74: DD348100 00083C06
	global_atomic_add_f32 v6, v64, s[8:9] offset:512           // 000000004B7C: DD348200 00084006
	global_atomic_add_f32 v6, v68, s[8:9] offset:768           // 000000004B84: DD348300 00084406
	s_mov_b64 exec, s[36:37]                                   // 000000004B8C: BEFE0124
	v_mov_b32_e32 v6, v35                                      // 000000004B90: 7E0C0323
	s_mov_b64 s[60:61], 0                                      // 000000004B94: BEBC0180
	v_readlane_b32 s82, v3, 2                                  // 000000004B98: D2890052 00010503
	s_and_b32 s82, s82, 0xffffff                               // 000000004BA0: 8652FF52 00FFFFFF
	s_cmp_lt_u32 s82, s66                                      // 000000004BA8: BF0A4252
	s_cselect_b32 s20, s36, s60                                // 000000004BAC: 85143C24
	v_readlane_b32 s82, v3, 3                                  // 000000004BB0: D2890052 00010703
	s_and_b32 s82, s82, 0xffffff                               // 000000004BB8: 8652FF52 00FFFFFF
	s_cmp_lt_u32 s82, s66                                      // 000000004BC0: BF0A4252
	s_cselect_b32 s21, s36, s60                                // 000000004BC4: 85153C24
	s_mov_b64 exec, s[20:21]                                   // 000000004BC8: BEFE0114
	global_atomic_add_f32 v6, v57, s[8:9]                      // 000000004BCC: DD348000 00083906
	global_atomic_add_f32 v6, v61, s[8:9] offset:256           // 000000004BD4: DD348100 00083D06
	global_atomic_add_f32 v6, v65, s[8:9] offset:512           // 000000004BDC: DD348200 00084106
	global_atomic_add_f32 v6, v69, s[8:9] offset:768           // 000000004BE4: DD348300 00084506
	s_mov_b64 exec, s[36:37]                                   // 000000004BEC: BEFE0124
	ds_write_b64 v20, v[58:59]                                 // 000000004BF0: D89A0000 00003A14
	ds_write_b64 v20, v[62:63] offset:2176                     // 000000004BF8: D89A0880 00003E14
	ds_write_b64 v20, v[66:67] offset:4352                     // 000000004C00: D89A1100 00004214
	ds_write_b64 v20, v[70:71] offset:6528                     // 000000004C08: D89A1980 00004614
	s_waitcnt lgkmcnt(0)                                       // 000000004C10: BF8CC07F
	s_barrier                                                  // 000000004C14: BF8A0000
	ds_read_b32 v58, v21                                       // 000000004C18: D86C0000 3A000015
	ds_read_b32 v59, v21 offset:64                             // 000000004C20: D86C0040 3B000015
	ds_read_b32 v62, v21 offset:2176                           // 000000004C28: D86C0880 3E000015
	ds_read_b32 v63, v21 offset:2240                           // 000000004C30: D86C08C0 3F000015
	ds_read_b32 v66, v21 offset:4352                           // 000000004C38: D86C1100 42000015
	ds_read_b32 v67, v21 offset:4416                           // 000000004C40: D86C1140 43000015
	ds_read_b32 v70, v21 offset:6528                           // 000000004C48: D86C1980 46000015
	ds_read_b32 v71, v21 offset:6592                           // 000000004C50: D86C19C0 47000015
	s_waitcnt lgkmcnt(0)                                       // 000000004C58: BF8CC07F
	v_mov_b32_e32 v7, 0                                        // 000000004C5C: 7E0E0280
	s_mov_b64 exec, s[36:37]                                   // 000000004C60: BEFE0124
	v_mov_b32_e32 v6, v34                                      // 000000004C64: 7E0C0322
	s_mov_b64 s[60:61], 0                                      // 000000004C68: BEBC0180
	v_readlane_b32 s82, v3, 0                                  // 000000004C6C: D2890052 00010103
	s_and_b32 s82, s82, 0xffffff                               // 000000004C74: 8652FF52 00FFFFFF
	s_cmp_lt_u32 s82, s66                                      // 000000004C7C: BF0A4252
	s_cselect_b32 s20, s36, s60                                // 000000004C80: 85143C24
	v_readlane_b32 s82, v3, 1                                  // 000000004C84: D2890052 00010303
	s_and_b32 s82, s82, 0xffffff                               // 000000004C8C: 8652FF52 00FFFFFF
	s_cmp_lt_u32 s82, s66                                      // 000000004C94: BF0A4252
	s_cselect_b32 s21, s36, s60                                // 000000004C98: 85153C24
	s_mov_b64 exec, s[20:21]                                   // 000000004C9C: BEFE0114
	global_atomic_add_f32 v6, v58, s[8:9] offset:8             // 000000004CA0: DD348008 00083A06
	global_atomic_add_f32 v6, v62, s[8:9] offset:264           // 000000004CA8: DD348108 00083E06
	global_atomic_add_f32 v6, v66, s[8:9] offset:520           // 000000004CB0: DD348208 00084206
	global_atomic_add_f32 v6, v70, s[8:9] offset:776           // 000000004CB8: DD348308 00084606
	s_mov_b64 exec, s[36:37]                                   // 000000004CC0: BEFE0124
	v_mov_b32_e32 v6, v35                                      // 000000004CC4: 7E0C0323
	s_mov_b64 s[60:61], 0                                      // 000000004CC8: BEBC0180
	v_readlane_b32 s82, v3, 2                                  // 000000004CCC: D2890052 00010503
	s_and_b32 s82, s82, 0xffffff                               // 000000004CD4: 8652FF52 00FFFFFF
	s_cmp_lt_u32 s82, s66                                      // 000000004CDC: BF0A4252
	s_cselect_b32 s20, s36, s60                                // 000000004CE0: 85143C24
	v_readlane_b32 s82, v3, 3                                  // 000000004CE4: D2890052 00010703
	s_and_b32 s82, s82, 0xffffff                               // 000000004CEC: 8652FF52 00FFFFFF
	s_cmp_lt_u32 s82, s66                                      // 000000004CF4: BF0A4252
	s_cselect_b32 s21, s36, s60                                // 000000004CF8: 85153C24
	s_mov_b64 exec, s[20:21]                                   // 000000004CFC: BEFE0114
	global_atomic_add_f32 v6, v59, s[8:9] offset:8             // 000000004D00: DD348008 00083B06
	global_atomic_add_f32 v6, v63, s[8:9] offset:264           // 000000004D08: DD348108 00083F06
	global_atomic_add_f32 v6, v67, s[8:9] offset:520           // 000000004D10: DD348208 00084306
	global_atomic_add_f32 v6, v71, s[8:9] offset:776           // 000000004D18: DD348308 00084706
	s_mov_b64 exec, s[36:37]                                   // 000000004D20: BEFE0124
	s_branch label_0FE0                                        // 000000004D24: BF820713

0000000000004d28 <label_08CD>:
	s_waitcnt vmcnt(10) lgkmcnt(0)                             // 000000004D28: BF8C007A
	v_mfma_f32_16x16x32_fp8_fp8 v[40:43], a[16:17], a[0:1], v[40:43]// 000000004D2C: D3F30028 1CA20110
	buffer_load_dwordx4 a[80:83], v36, s[24:27], 0 offen       // 000000004D34: E05C1000 80865024
	v_mfma_f32_16x16x32_fp8_fp8 v[40:43], a[18:19], a[2:3], v[40:43]// 000000004D3C: D3F30028 1CA20512
	v_mfma_f32_16x16x32_fp8_fp8 v[40:43], a[20:21], a[4:5], v[40:43]// 000000004D44: D3F30028 1CA20914
	v_mfma_f32_16x16x32_fp8_fp8 v[40:43], a[22:23], a[6:7], v[40:43]// 000000004D4C: D3F30028 1CA20D16
	v_mfma_f32_16x16x32_fp8_fp8 v[44:47], a[24:25], a[0:1], v[44:47]// 000000004D54: D3F3002C 1CB20118
	buffer_load_dwordx4 a[84:87], v36, s[24:27], 0 offen offset:1024// 000000004D5C: E05C1400 80865424
	v_mfma_f32_16x16x32_fp8_fp8 v[44:47], a[26:27], a[2:3], v[44:47]// 000000004D64: D3F3002C 1CB2051A
	v_mfma_f32_16x16x32_fp8_fp8 v[44:47], a[28:29], a[4:5], v[44:47]// 000000004D6C: D3F3002C 1CB2091C
	v_mfma_f32_16x16x32_fp8_fp8 v[44:47], a[30:31], a[6:7], v[44:47]// 000000004D74: D3F3002C 1CB20D1E
	v_mfma_f32_16x16x32_fp8_fp8 v[48:51], a[32:33], a[0:1], v[48:51]// 000000004D7C: D3F30030 1CC20120
	buffer_load_dwordx4 a[88:91], v37, s[24:27], 0 offen       // 000000004D84: E05C1000 80865825
	v_mfma_f32_16x16x32_fp8_fp8 v[48:51], a[34:35], a[2:3], v[48:51]// 000000004D8C: D3F30030 1CC20522
	v_mfma_f32_16x16x32_fp8_fp8 v[48:51], a[36:37], a[4:5], v[48:51]// 000000004D94: D3F30030 1CC20924
	v_mfma_f32_16x16x32_fp8_fp8 v[48:51], a[38:39], a[6:7], v[48:51]// 000000004D9C: D3F30030 1CC20D26
	v_mfma_f32_16x16x32_fp8_fp8 v[52:55], a[40:41], a[0:1], v[52:55]// 000000004DA4: D3F30034 1CD20128
	buffer_load_dwordx4 a[92:95], v37, s[24:27], 0 offen offset:1024// 000000004DAC: E05C1400 80865C25
	v_mfma_f32_16x16x32_fp8_fp8 v[52:55], a[42:43], a[2:3], v[52:55]// 000000004DB4: D3F30034 1CD2052A
	v_mfma_f32_16x16x32_fp8_fp8 v[52:55], a[44:45], a[4:5], v[52:55]// 000000004DBC: D3F30034 1CD2092C
	v_mfma_f32_16x16x32_fp8_fp8 v[52:55], a[46:47], a[6:7], v[52:55]// 000000004DC4: D3F30034 1CD20D2E
	buffer_load_dwordx4 a[96:99], v38, s[24:27], 0 offen       // 000000004DCC: E05C1000 80866026
	buffer_load_dwordx4 a[100:103], v38, s[24:27], 0 offen offset:1024// 000000004DD4: E05C1400 80866426
	buffer_load_dwordx4 a[104:107], v39, s[24:27], 0 offen     // 000000004DDC: E05C1000 80866827
	buffer_load_dwordx4 a[108:111], v39, s[24:27], 0 offen offset:1024// 000000004DE4: E05C1400 80866C27
	buffer_load_dword v34, s[20:23], 0 offen lds               // 000000004DEC: E0511000 80050022
	s_add_u32 m0, 0x100, s50                                   // 000000004DF4: 807C32FF 00000100
	buffer_load_dword v35, s[20:23], 0 offen lds               // 000000004DFC: E0511000 80050023
	s_add_u32 m0, 0, s48                                       // 000000004E04: 807C3080
	s_waitcnt vmcnt(10)                                        // 000000004E08: BF8C0F7A
	s_barrier                                                  // 000000004E0C: BF8A0000
	v_mfma_f32_16x16x32_fp8_fp8 v[56:59], a[48:49], a[0:1], v[56:59]// 000000004E10: D3F30038 1CE20130
	buffer_load_dwordx4 a[16:19], v36, s[84:87], 0 offen       // 000000004E18: E05C1000 80951024
	v_mfma_f32_16x16x32_fp8_fp8 v[56:59], a[50:51], a[2:3], v[56:59]// 000000004E20: D3F30038 1CE20532
	v_mfma_f32_16x16x32_fp8_fp8 v[56:59], a[52:53], a[4:5], v[56:59]// 000000004E28: D3F30038 1CE20934
	ds_read_b128 a[8:11], v2 offset:2176                       // 000000004E30: DBFE0880 08000002
	ds_read_b128 a[12:15], v2 offset:2240                      // 000000004E38: DBFE08C0 0C000002
	v_mfma_f32_16x16x32_fp8_fp8 v[56:59], a[54:55], a[6:7], v[56:59]// 000000004E40: D3F30038 1CE20D36
	v_mfma_f32_16x16x32_fp8_fp8 v[60:63], a[56:57], a[0:1], v[60:63]// 000000004E48: D3F3003C 1CF20138
	buffer_load_dwordx4 a[20:23], v36, s[84:87], 0 offen offset:1024// 000000004E50: E05C1400 80951424
	v_mfma_f32_16x16x32_fp8_fp8 v[60:63], a[58:59], a[2:3], v[60:63]// 000000004E58: D3F3003C 1CF2053A
	v_mfma_f32_16x16x32_fp8_fp8 v[60:63], a[60:61], a[4:5], v[60:63]// 000000004E60: D3F3003C 1CF2093C
	v_mfma_f32_16x16x32_fp8_fp8 v[60:63], a[62:63], a[6:7], v[60:63]// 000000004E68: D3F3003C 1CF20D3E
	v_mfma_f32_16x16x32_fp8_fp8 v[64:67], a[64:65], a[0:1], v[64:67]// 000000004E70: D3F30040 1D020140
	buffer_load_dwordx4 a[24:27], v37, s[84:87], 0 offen       // 000000004E78: E05C1000 80951825
	s_add_u32 s60, 0x180, s80                                  // 000000004E80: 803C50FF 00000180
	s_cmp_lt_u32 s60, s81                                      // 000000004E88: BF0A513C
	s_cselect_b32 s57, s57, 0                                  // 000000004E8C: 85398039
	v_mfma_f32_16x16x32_fp8_fp8 v[64:67], a[66:67], a[2:3], v[64:67]// 000000004E90: D3F30040 1D020542
	s_add_u32 s60, 0x100, s80                                  // 000000004E98: 803C50FF 00000100
	s_cmp_lt_u32 s60, s81                                      // 000000004EA0: BF0A513C
	s_cselect_b32 s58, s58, 0                                  // 000000004EA4: 853A803A
	v_mfma_f32_16x16x32_fp8_fp8 v[64:67], a[68:69], a[4:5], v[64:67]// 000000004EA8: D3F30040 1D020944
	s_add_u32 s60, 0x100, s80                                  // 000000004EB0: 803C50FF 00000100
	s_cmp_lt_u32 s60, s81                                      // 000000004EB8: BF0A513C
	s_cselect_b32 s83, s83, 0                                  // 000000004EBC: 85538053
	v_mfma_f32_16x16x32_fp8_fp8 v[64:67], a[70:71], a[6:7], v[64:67]// 000000004EC0: D3F30040 1D020D46
	s_add_u32 s24, s58, s24                                    // 000000004EC8: 8018183A
	s_addc_u32 s25, 0, s25                                     // 000000004ECC: 82191980
	v_mfma_f32_16x16x32_fp8_fp8 v[68:71], a[72:73], a[0:1], v[68:71]// 000000004ED0: D3F30044 1D120148
	buffer_load_dwordx4 a[28:31], v37, s[84:87], 0 offen offset:1024// 000000004ED8: E05C1400 80951C25
	s_add_u32 s20, s57, s20                                    // 000000004EE0: 80141439
	s_addc_u32 s21, 0, s21                                     // 000000004EE4: 82151580
	v_mfma_f32_16x16x32_fp8_fp8 v[68:71], a[74:75], a[2:3], v[68:71]// 000000004EE8: D3F30044 1D12054A
	v_mfma_f32_16x16x32_fp8_fp8 v[68:71], a[76:77], a[4:5], v[68:71]// 000000004EF0: D3F30044 1D12094C
	v_mfma_f32_16x16x32_fp8_fp8 v[68:71], a[78:79], a[6:7], v[68:71]// 000000004EF8: D3F30044 1D120D4E
	buffer_load_dwordx4 a[32:35], v38, s[84:87], 0 offen       // 000000004F00: E05C1000 80952026
	buffer_load_dwordx4 a[36:39], v38, s[84:87], 0 offen offset:1024// 000000004F08: E05C1400 80952426
	buffer_load_dwordx4 a[40:43], v39, s[84:87], 0 offen       // 000000004F10: E05C1000 80952827
	buffer_load_dwordx4 a[44:47], v39, s[84:87], 0 offen offset:1024// 000000004F18: E05C1400 80952C27
	s_add_u32 s84, s83, s84                                    // 000000004F20: 80545453
	s_addc_u32 s85, 0, s85                                     // 000000004F24: 82555580
	s_addk_i32 s80, 0x80                                       // 000000004F28: B7500080
	s_cmp_lt_i32 s80, s81                                      // 000000004F2C: BF045150
	s_cbranch_scc0 label_0BE0                                  // 000000004F30: BF840290
	s_waitcnt vmcnt(10) lgkmcnt(0)                             // 000000004F34: BF8C007A
	v_mfma_f32_16x16x32_fp8_fp8 v[40:43], a[80:81], a[8:9], v[40:43]// 000000004F38: D3F30028 1CA21150
	buffer_load_dwordx4 a[48:51], v36, s[24:27], 0 offen       // 000000004F40: E05C1000 80863024
	v_mfma_f32_16x16x32_fp8_fp8 v[40:43], a[82:83], a[10:11], v[40:43]// 000000004F48: D3F30028 1CA21552
	v_mfma_f32_16x16x32_fp8_fp8 v[40:43], a[84:85], a[12:13], v[40:43]// 000000004F50: D3F30028 1CA21954
	v_mfma_f32_16x16x32_fp8_fp8 v[40:43], a[86:87], a[14:15], v[40:43]// 000000004F58: D3F30028 1CA21D56
	v_mfma_f32_16x16x32_fp8_fp8 v[44:47], a[88:89], a[8:9], v[44:47]// 000000004F60: D3F3002C 1CB21158
	buffer_load_dwordx4 a[52:55], v36, s[24:27], 0 offen offset:1024// 000000004F68: E05C1400 80863424
	v_mfma_f32_16x16x32_fp8_fp8 v[44:47], a[90:91], a[10:11], v[44:47]// 000000004F70: D3F3002C 1CB2155A
	v_mfma_f32_16x16x32_fp8_fp8 v[44:47], a[92:93], a[12:13], v[44:47]// 000000004F78: D3F3002C 1CB2195C
	v_mfma_f32_16x16x32_fp8_fp8 v[44:47], a[94:95], a[14:15], v[44:47]// 000000004F80: D3F3002C 1CB21D5E
	v_mfma_f32_16x16x32_fp8_fp8 v[48:51], a[96:97], a[8:9], v[48:51]// 000000004F88: D3F30030 1CC21160
	buffer_load_dwordx4 a[56:59], v37, s[24:27], 0 offen       // 000000004F90: E05C1000 80863825
	v_mfma_f32_16x16x32_fp8_fp8 v[48:51], a[98:99], a[10:11], v[48:51]// 000000004F98: D3F30030 1CC21562
	v_mfma_f32_16x16x32_fp8_fp8 v[48:51], a[100:101], a[12:13], v[48:51]// 000000004FA0: D3F30030 1CC21964
	v_mfma_f32_16x16x32_fp8_fp8 v[48:51], a[102:103], a[14:15], v[48:51]// 000000004FA8: D3F30030 1CC21D66
	v_mfma_f32_16x16x32_fp8_fp8 v[52:55], a[104:105], a[8:9], v[52:55]// 000000004FB0: D3F30034 1CD21168
	buffer_load_dwordx4 a[60:63], v37, s[24:27], 0 offen offset:1024// 000000004FB8: E05C1400 80863C25
	v_mfma_f32_16x16x32_fp8_fp8 v[52:55], a[106:107], a[10:11], v[52:55]// 000000004FC0: D3F30034 1CD2156A
	v_mfma_f32_16x16x32_fp8_fp8 v[52:55], a[108:109], a[12:13], v[52:55]// 000000004FC8: D3F30034 1CD2196C
	v_mfma_f32_16x16x32_fp8_fp8 v[52:55], a[110:111], a[14:15], v[52:55]// 000000004FD0: D3F30034 1CD21D6E
	buffer_load_dwordx4 a[64:67], v38, s[24:27], 0 offen       // 000000004FD8: E05C1000 80864026
	buffer_load_dwordx4 a[68:71], v38, s[24:27], 0 offen offset:1024// 000000004FE0: E05C1400 80864426
	buffer_load_dwordx4 a[72:75], v39, s[24:27], 0 offen       // 000000004FE8: E05C1000 80864827
	buffer_load_dwordx4 a[76:79], v39, s[24:27], 0 offen offset:1024// 000000004FF0: E05C1400 80864C27
	buffer_load_dword v34, s[20:23], 0 offen lds               // 000000004FF8: E0511000 80050022
	s_add_u32 m0, 0x100, s48                                   // 000000005000: 807C30FF 00000100
	buffer_load_dword v35, s[20:23], 0 offen lds               // 000000005008: E0511000 80050023
	s_add_u32 m0, 0, s49                                       // 000000005010: 807C3180
	s_waitcnt vmcnt(10)                                        // 000000005014: BF8C0F7A
	s_barrier                                                  // 000000005018: BF8A0000
	v_mfma_f32_16x16x32_fp8_fp8 v[56:59], a[16:17], a[8:9], v[56:59]// 00000000501C: D3F30038 1CE21110
	buffer_load_dwordx4 a[80:83], v36, s[84:87], 0 offen       // 000000005024: E05C1000 80955024
	v_mfma_f32_16x16x32_fp8_fp8 v[56:59], a[18:19], a[10:11], v[56:59]// 00000000502C: D3F30038 1CE21512
	v_mfma_f32_16x16x32_fp8_fp8 v[56:59], a[20:21], a[12:13], v[56:59]// 000000005034: D3F30038 1CE21914
	ds_read_b128 a[0:3], v2 offset:4352                        // 00000000503C: DBFE1100 00000002
	ds_read_b128 a[4:7], v2 offset:4416                        // 000000005044: DBFE1140 04000002
	v_mfma_f32_16x16x32_fp8_fp8 v[56:59], a[22:23], a[14:15], v[56:59]// 00000000504C: D3F30038 1CE21D16
	v_mfma_f32_16x16x32_fp8_fp8 v[60:63], a[24:25], a[8:9], v[60:63]// 000000005054: D3F3003C 1CF21118
	buffer_load_dwordx4 a[84:87], v36, s[84:87], 0 offen offset:1024// 00000000505C: E05C1400 80955424
	v_mfma_f32_16x16x32_fp8_fp8 v[60:63], a[26:27], a[10:11], v[60:63]// 000000005064: D3F3003C 1CF2151A
	v_mfma_f32_16x16x32_fp8_fp8 v[60:63], a[28:29], a[12:13], v[60:63]// 00000000506C: D3F3003C 1CF2191C
	v_mfma_f32_16x16x32_fp8_fp8 v[60:63], a[30:31], a[14:15], v[60:63]// 000000005074: D3F3003C 1CF21D1E
	v_mfma_f32_16x16x32_fp8_fp8 v[64:67], a[32:33], a[8:9], v[64:67]// 00000000507C: D3F30040 1D021120
	buffer_load_dwordx4 a[88:91], v37, s[84:87], 0 offen       // 000000005084: E05C1000 80955825
	s_add_u32 s60, 0x180, s80                                  // 00000000508C: 803C50FF 00000180
	s_cmp_lt_u32 s60, s81                                      // 000000005094: BF0A513C
	s_cselect_b32 s57, s57, 0                                  // 000000005098: 85398039
	v_mfma_f32_16x16x32_fp8_fp8 v[64:67], a[34:35], a[10:11], v[64:67]// 00000000509C: D3F30040 1D021522
	s_add_u32 s60, 0x100, s80                                  // 0000000050A4: 803C50FF 00000100
	s_cmp_lt_u32 s60, s81                                      // 0000000050AC: BF0A513C
	s_cselect_b32 s58, s58, 0                                  // 0000000050B0: 853A803A
	v_mfma_f32_16x16x32_fp8_fp8 v[64:67], a[36:37], a[12:13], v[64:67]// 0000000050B4: D3F30040 1D021924
	s_add_u32 s60, 0x100, s80                                  // 0000000050BC: 803C50FF 00000100
	s_cmp_lt_u32 s60, s81                                      // 0000000050C4: BF0A513C
	s_cselect_b32 s83, s83, 0                                  // 0000000050C8: 85538053
	v_mfma_f32_16x16x32_fp8_fp8 v[64:67], a[38:39], a[14:15], v[64:67]// 0000000050CC: D3F30040 1D021D26
	s_add_u32 s24, s58, s24                                    // 0000000050D4: 8018183A
	s_addc_u32 s25, 0, s25                                     // 0000000050D8: 82191980
	v_mfma_f32_16x16x32_fp8_fp8 v[68:71], a[40:41], a[8:9], v[68:71]// 0000000050DC: D3F30044 1D121128
	buffer_load_dwordx4 a[92:95], v37, s[84:87], 0 offen offset:1024// 0000000050E4: E05C1400 80955C25
	s_add_u32 s20, s57, s20                                    // 0000000050EC: 80141439
	s_addc_u32 s21, 0, s21                                     // 0000000050F0: 82151580
	v_mfma_f32_16x16x32_fp8_fp8 v[68:71], a[42:43], a[10:11], v[68:71]// 0000000050F4: D3F30044 1D12152A
	v_mfma_f32_16x16x32_fp8_fp8 v[68:71], a[44:45], a[12:13], v[68:71]// 0000000050FC: D3F30044 1D12192C
	v_mfma_f32_16x16x32_fp8_fp8 v[68:71], a[46:47], a[14:15], v[68:71]// 000000005104: D3F30044 1D121D2E
	buffer_load_dwordx4 a[96:99], v38, s[84:87], 0 offen       // 00000000510C: E05C1000 80956026
	buffer_load_dwordx4 a[100:103], v38, s[84:87], 0 offen offset:1024// 000000005114: E05C1400 80956426
	buffer_load_dwordx4 a[104:107], v39, s[84:87], 0 offen     // 00000000511C: E05C1000 80956827
	buffer_load_dwordx4 a[108:111], v39, s[84:87], 0 offen offset:1024// 000000005124: E05C1400 80956C27
	s_add_u32 s84, s83, s84                                    // 00000000512C: 80545453
	s_addc_u32 s85, 0, s85                                     // 000000005130: 82555580
	s_addk_i32 s80, 0x80                                       // 000000005134: B7500080
	s_cmp_lt_i32 s80, s81                                      // 000000005138: BF045150
	s_cbranch_scc0 label_0BE0                                  // 00000000513C: BF84020D
	s_waitcnt vmcnt(10) lgkmcnt(0)                             // 000000005140: BF8C007A
	v_mfma_f32_16x16x32_fp8_fp8 v[40:43], a[48:49], a[0:1], v[40:43]// 000000005144: D3F30028 1CA20130
	buffer_load_dwordx4 a[16:19], v36, s[24:27], 0 offen       // 00000000514C: E05C1000 80861024
	v_mfma_f32_16x16x32_fp8_fp8 v[40:43], a[50:51], a[2:3], v[40:43]// 000000005154: D3F30028 1CA20532
	v_mfma_f32_16x16x32_fp8_fp8 v[40:43], a[52:53], a[4:5], v[40:43]// 00000000515C: D3F30028 1CA20934
	v_mfma_f32_16x16x32_fp8_fp8 v[40:43], a[54:55], a[6:7], v[40:43]// 000000005164: D3F30028 1CA20D36
	v_mfma_f32_16x16x32_fp8_fp8 v[44:47], a[56:57], a[0:1], v[44:47]// 00000000516C: D3F3002C 1CB20138
	buffer_load_dwordx4 a[20:23], v36, s[24:27], 0 offen offset:1024// 000000005174: E05C1400 80861424
	v_mfma_f32_16x16x32_fp8_fp8 v[44:47], a[58:59], a[2:3], v[44:47]// 00000000517C: D3F3002C 1CB2053A
	v_mfma_f32_16x16x32_fp8_fp8 v[44:47], a[60:61], a[4:5], v[44:47]// 000000005184: D3F3002C 1CB2093C
	v_mfma_f32_16x16x32_fp8_fp8 v[44:47], a[62:63], a[6:7], v[44:47]// 00000000518C: D3F3002C 1CB20D3E
	v_mfma_f32_16x16x32_fp8_fp8 v[48:51], a[64:65], a[0:1], v[48:51]// 000000005194: D3F30030 1CC20140
	buffer_load_dwordx4 a[24:27], v37, s[24:27], 0 offen       // 00000000519C: E05C1000 80861825
	v_mfma_f32_16x16x32_fp8_fp8 v[48:51], a[66:67], a[2:3], v[48:51]// 0000000051A4: D3F30030 1CC20542
	v_mfma_f32_16x16x32_fp8_fp8 v[48:51], a[68:69], a[4:5], v[48:51]// 0000000051AC: D3F30030 1CC20944
	v_mfma_f32_16x16x32_fp8_fp8 v[48:51], a[70:71], a[6:7], v[48:51]// 0000000051B4: D3F30030 1CC20D46
	v_mfma_f32_16x16x32_fp8_fp8 v[52:55], a[72:73], a[0:1], v[52:55]// 0000000051BC: D3F30034 1CD20148
	buffer_load_dwordx4 a[28:31], v37, s[24:27], 0 offen offset:1024// 0000000051C4: E05C1400 80861C25
	v_mfma_f32_16x16x32_fp8_fp8 v[52:55], a[74:75], a[2:3], v[52:55]// 0000000051CC: D3F30034 1CD2054A
	v_mfma_f32_16x16x32_fp8_fp8 v[52:55], a[76:77], a[4:5], v[52:55]// 0000000051D4: D3F30034 1CD2094C
	v_mfma_f32_16x16x32_fp8_fp8 v[52:55], a[78:79], a[6:7], v[52:55]// 0000000051DC: D3F30034 1CD20D4E
	buffer_load_dwordx4 a[32:35], v38, s[24:27], 0 offen       // 0000000051E4: E05C1000 80862026
	buffer_load_dwordx4 a[36:39], v38, s[24:27], 0 offen offset:1024// 0000000051EC: E05C1400 80862426
	buffer_load_dwordx4 a[40:43], v39, s[24:27], 0 offen       // 0000000051F4: E05C1000 80862827
	buffer_load_dwordx4 a[44:47], v39, s[24:27], 0 offen offset:1024// 0000000051FC: E05C1400 80862C27
	buffer_load_dword v34, s[20:23], 0 offen lds               // 000000005204: E0511000 80050022
	s_add_u32 m0, 0x100, s49                                   // 00000000520C: 807C31FF 00000100
	buffer_load_dword v35, s[20:23], 0 offen lds               // 000000005214: E0511000 80050023
	s_add_u32 m0, 0, s50                                       // 00000000521C: 807C3280
	s_waitcnt vmcnt(10)                                        // 000000005220: BF8C0F7A
	s_barrier                                                  // 000000005224: BF8A0000
	v_mfma_f32_16x16x32_fp8_fp8 v[56:59], a[80:81], a[0:1], v[56:59]// 000000005228: D3F30038 1CE20150
	buffer_load_dwordx4 a[48:51], v36, s[84:87], 0 offen       // 000000005230: E05C1000 80953024
	v_mfma_f32_16x16x32_fp8_fp8 v[56:59], a[82:83], a[2:3], v[56:59]// 000000005238: D3F30038 1CE20552
	v_mfma_f32_16x16x32_fp8_fp8 v[56:59], a[84:85], a[4:5], v[56:59]// 000000005240: D3F30038 1CE20954
	ds_read_b128 a[8:11], v2                                   // 000000005248: DBFE0000 08000002
	ds_read_b128 a[12:15], v2 offset:64                        // 000000005250: DBFE0040 0C000002
	v_mfma_f32_16x16x32_fp8_fp8 v[56:59], a[86:87], a[6:7], v[56:59]// 000000005258: D3F30038 1CE20D56
	v_mfma_f32_16x16x32_fp8_fp8 v[60:63], a[88:89], a[0:1], v[60:63]// 000000005260: D3F3003C 1CF20158
	buffer_load_dwordx4 a[52:55], v36, s[84:87], 0 offen offset:1024// 000000005268: E05C1400 80953424
	v_mfma_f32_16x16x32_fp8_fp8 v[60:63], a[90:91], a[2:3], v[60:63]// 000000005270: D3F3003C 1CF2055A
	v_mfma_f32_16x16x32_fp8_fp8 v[60:63], a[92:93], a[4:5], v[60:63]// 000000005278: D3F3003C 1CF2095C
	v_mfma_f32_16x16x32_fp8_fp8 v[60:63], a[94:95], a[6:7], v[60:63]// 000000005280: D3F3003C 1CF20D5E
	v_mfma_f32_16x16x32_fp8_fp8 v[64:67], a[96:97], a[0:1], v[64:67]// 000000005288: D3F30040 1D020160
	buffer_load_dwordx4 a[56:59], v37, s[84:87], 0 offen       // 000000005290: E05C1000 80953825
	s_add_u32 s60, 0x180, s80                                  // 000000005298: 803C50FF 00000180
	s_cmp_lt_u32 s60, s81                                      // 0000000052A0: BF0A513C
	s_cselect_b32 s57, s57, 0                                  // 0000000052A4: 85398039
	v_mfma_f32_16x16x32_fp8_fp8 v[64:67], a[98:99], a[2:3], v[64:67]// 0000000052A8: D3F30040 1D020562
	s_add_u32 s60, 0x100, s80                                  // 0000000052B0: 803C50FF 00000100
	s_cmp_lt_u32 s60, s81                                      // 0000000052B8: BF0A513C
	s_cselect_b32 s58, s58, 0                                  // 0000000052BC: 853A803A
	v_mfma_f32_16x16x32_fp8_fp8 v[64:67], a[100:101], a[4:5], v[64:67]// 0000000052C0: D3F30040 1D020964
	s_add_u32 s60, 0x100, s80                                  // 0000000052C8: 803C50FF 00000100
	s_cmp_lt_u32 s60, s81                                      // 0000000052D0: BF0A513C
	s_cselect_b32 s83, s83, 0                                  // 0000000052D4: 85538053
	v_mfma_f32_16x16x32_fp8_fp8 v[64:67], a[102:103], a[6:7], v[64:67]// 0000000052D8: D3F30040 1D020D66
	s_add_u32 s24, s58, s24                                    // 0000000052E0: 8018183A
	s_addc_u32 s25, 0, s25                                     // 0000000052E4: 82191980
	v_mfma_f32_16x16x32_fp8_fp8 v[68:71], a[104:105], a[0:1], v[68:71]// 0000000052E8: D3F30044 1D120168
	buffer_load_dwordx4 a[60:63], v37, s[84:87], 0 offen offset:1024// 0000000052F0: E05C1400 80953C25
	s_add_u32 s20, s57, s20                                    // 0000000052F8: 80141439
	s_addc_u32 s21, 0, s21                                     // 0000000052FC: 82151580
	v_mfma_f32_16x16x32_fp8_fp8 v[68:71], a[106:107], a[2:3], v[68:71]// 000000005300: D3F30044 1D12056A
	v_mfma_f32_16x16x32_fp8_fp8 v[68:71], a[108:109], a[4:5], v[68:71]// 000000005308: D3F30044 1D12096C
	v_mfma_f32_16x16x32_fp8_fp8 v[68:71], a[110:111], a[6:7], v[68:71]// 000000005310: D3F30044 1D120D6E
	buffer_load_dwordx4 a[64:67], v38, s[84:87], 0 offen       // 000000005318: E05C1000 80954026
	buffer_load_dwordx4 a[68:71], v38, s[84:87], 0 offen offset:1024// 000000005320: E05C1400 80954426
	buffer_load_dwordx4 a[72:75], v39, s[84:87], 0 offen       // 000000005328: E05C1000 80954827
	buffer_load_dwordx4 a[76:79], v39, s[84:87], 0 offen offset:1024// 000000005330: E05C1400 80954C27
	s_add_u32 s84, s83, s84                                    // 000000005338: 80545453
	s_addc_u32 s85, 0, s85                                     // 00000000533C: 82555580
	s_addk_i32 s80, 0x80                                       // 000000005340: B7500080
	s_cmp_lt_i32 s80, s81                                      // 000000005344: BF045150
	s_cbranch_scc0 label_0BE0                                  // 000000005348: BF84018A
	s_waitcnt vmcnt(10) lgkmcnt(0)                             // 00000000534C: BF8C007A
	v_mfma_f32_16x16x32_fp8_fp8 v[40:43], a[16:17], a[8:9], v[40:43]// 000000005350: D3F30028 1CA21110
	buffer_load_dwordx4 a[80:83], v36, s[24:27], 0 offen       // 000000005358: E05C1000 80865024
	v_mfma_f32_16x16x32_fp8_fp8 v[40:43], a[18:19], a[10:11], v[40:43]// 000000005360: D3F30028 1CA21512
	v_mfma_f32_16x16x32_fp8_fp8 v[40:43], a[20:21], a[12:13], v[40:43]// 000000005368: D3F30028 1CA21914
	v_mfma_f32_16x16x32_fp8_fp8 v[40:43], a[22:23], a[14:15], v[40:43]// 000000005370: D3F30028 1CA21D16
	v_mfma_f32_16x16x32_fp8_fp8 v[44:47], a[24:25], a[8:9], v[44:47]// 000000005378: D3F3002C 1CB21118
	buffer_load_dwordx4 a[84:87], v36, s[24:27], 0 offen offset:1024// 000000005380: E05C1400 80865424
	v_mfma_f32_16x16x32_fp8_fp8 v[44:47], a[26:27], a[10:11], v[44:47]// 000000005388: D3F3002C 1CB2151A
	v_mfma_f32_16x16x32_fp8_fp8 v[44:47], a[28:29], a[12:13], v[44:47]// 000000005390: D3F3002C 1CB2191C
	v_mfma_f32_16x16x32_fp8_fp8 v[44:47], a[30:31], a[14:15], v[44:47]// 000000005398: D3F3002C 1CB21D1E
	v_mfma_f32_16x16x32_fp8_fp8 v[48:51], a[32:33], a[8:9], v[48:51]// 0000000053A0: D3F30030 1CC21120
	buffer_load_dwordx4 a[88:91], v37, s[24:27], 0 offen       // 0000000053A8: E05C1000 80865825
	v_mfma_f32_16x16x32_fp8_fp8 v[48:51], a[34:35], a[10:11], v[48:51]// 0000000053B0: D3F30030 1CC21522
	v_mfma_f32_16x16x32_fp8_fp8 v[48:51], a[36:37], a[12:13], v[48:51]// 0000000053B8: D3F30030 1CC21924
	v_mfma_f32_16x16x32_fp8_fp8 v[48:51], a[38:39], a[14:15], v[48:51]// 0000000053C0: D3F30030 1CC21D26
	v_mfma_f32_16x16x32_fp8_fp8 v[52:55], a[40:41], a[8:9], v[52:55]// 0000000053C8: D3F30034 1CD21128
	buffer_load_dwordx4 a[92:95], v37, s[24:27], 0 offen offset:1024// 0000000053D0: E05C1400 80865C25
	v_mfma_f32_16x16x32_fp8_fp8 v[52:55], a[42:43], a[10:11], v[52:55]// 0000000053D8: D3F30034 1CD2152A
	v_mfma_f32_16x16x32_fp8_fp8 v[52:55], a[44:45], a[12:13], v[52:55]// 0000000053E0: D3F30034 1CD2192C
	v_mfma_f32_16x16x32_fp8_fp8 v[52:55], a[46:47], a[14:15], v[52:55]// 0000000053E8: D3F30034 1CD21D2E
	buffer_load_dwordx4 a[96:99], v38, s[24:27], 0 offen       // 0000000053F0: E05C1000 80866026
	buffer_load_dwordx4 a[100:103], v38, s[24:27], 0 offen offset:1024// 0000000053F8: E05C1400 80866426
	buffer_load_dwordx4 a[104:107], v39, s[24:27], 0 offen     // 000000005400: E05C1000 80866827
	buffer_load_dwordx4 a[108:111], v39, s[24:27], 0 offen offset:1024// 000000005408: E05C1400 80866C27
	buffer_load_dword v34, s[20:23], 0 offen lds               // 000000005410: E0511000 80050022
	s_add_u32 m0, 0x100, s50                                   // 000000005418: 807C32FF 00000100
	buffer_load_dword v35, s[20:23], 0 offen lds               // 000000005420: E0511000 80050023
	s_add_u32 m0, 0, s48                                       // 000000005428: 807C3080
	s_waitcnt vmcnt(10)                                        // 00000000542C: BF8C0F7A
	s_barrier                                                  // 000000005430: BF8A0000
	v_mfma_f32_16x16x32_fp8_fp8 v[56:59], a[48:49], a[8:9], v[56:59]// 000000005434: D3F30038 1CE21130
	buffer_load_dwordx4 a[16:19], v36, s[84:87], 0 offen       // 00000000543C: E05C1000 80951024
	v_mfma_f32_16x16x32_fp8_fp8 v[56:59], a[50:51], a[10:11], v[56:59]// 000000005444: D3F30038 1CE21532
	v_mfma_f32_16x16x32_fp8_fp8 v[56:59], a[52:53], a[12:13], v[56:59]// 00000000544C: D3F30038 1CE21934
	ds_read_b128 a[0:3], v2 offset:2176                        // 000000005454: DBFE0880 00000002
	ds_read_b128 a[4:7], v2 offset:2240                        // 00000000545C: DBFE08C0 04000002
	v_mfma_f32_16x16x32_fp8_fp8 v[56:59], a[54:55], a[14:15], v[56:59]// 000000005464: D3F30038 1CE21D36
	v_mfma_f32_16x16x32_fp8_fp8 v[60:63], a[56:57], a[8:9], v[60:63]// 00000000546C: D3F3003C 1CF21138
	buffer_load_dwordx4 a[20:23], v36, s[84:87], 0 offen offset:1024// 000000005474: E05C1400 80951424
	v_mfma_f32_16x16x32_fp8_fp8 v[60:63], a[58:59], a[10:11], v[60:63]// 00000000547C: D3F3003C 1CF2153A
	v_mfma_f32_16x16x32_fp8_fp8 v[60:63], a[60:61], a[12:13], v[60:63]// 000000005484: D3F3003C 1CF2193C
	v_mfma_f32_16x16x32_fp8_fp8 v[60:63], a[62:63], a[14:15], v[60:63]// 00000000548C: D3F3003C 1CF21D3E
	v_mfma_f32_16x16x32_fp8_fp8 v[64:67], a[64:65], a[8:9], v[64:67]// 000000005494: D3F30040 1D021140
	buffer_load_dwordx4 a[24:27], v37, s[84:87], 0 offen       // 00000000549C: E05C1000 80951825
	s_add_u32 s60, 0x180, s80                                  // 0000000054A4: 803C50FF 00000180
	s_cmp_lt_u32 s60, s81                                      // 0000000054AC: BF0A513C
	s_cselect_b32 s57, s57, 0                                  // 0000000054B0: 85398039
	v_mfma_f32_16x16x32_fp8_fp8 v[64:67], a[66:67], a[10:11], v[64:67]// 0000000054B4: D3F30040 1D021542
	s_add_u32 s60, 0x100, s80                                  // 0000000054BC: 803C50FF 00000100
	s_cmp_lt_u32 s60, s81                                      // 0000000054C4: BF0A513C
	s_cselect_b32 s58, s58, 0                                  // 0000000054C8: 853A803A
	v_mfma_f32_16x16x32_fp8_fp8 v[64:67], a[68:69], a[12:13], v[64:67]// 0000000054CC: D3F30040 1D021944
	s_add_u32 s60, 0x100, s80                                  // 0000000054D4: 803C50FF 00000100
	s_cmp_lt_u32 s60, s81                                      // 0000000054DC: BF0A513C
	s_cselect_b32 s83, s83, 0                                  // 0000000054E0: 85538053
	v_mfma_f32_16x16x32_fp8_fp8 v[64:67], a[70:71], a[14:15], v[64:67]// 0000000054E4: D3F30040 1D021D46
	s_add_u32 s24, s58, s24                                    // 0000000054EC: 8018183A
	s_addc_u32 s25, 0, s25                                     // 0000000054F0: 82191980
	v_mfma_f32_16x16x32_fp8_fp8 v[68:71], a[72:73], a[8:9], v[68:71]// 0000000054F4: D3F30044 1D121148
	buffer_load_dwordx4 a[28:31], v37, s[84:87], 0 offen offset:1024// 0000000054FC: E05C1400 80951C25
	s_add_u32 s20, s57, s20                                    // 000000005504: 80141439
	s_addc_u32 s21, 0, s21                                     // 000000005508: 82151580
	v_mfma_f32_16x16x32_fp8_fp8 v[68:71], a[74:75], a[10:11], v[68:71]// 00000000550C: D3F30044 1D12154A
	v_mfma_f32_16x16x32_fp8_fp8 v[68:71], a[76:77], a[12:13], v[68:71]// 000000005514: D3F30044 1D12194C
	v_mfma_f32_16x16x32_fp8_fp8 v[68:71], a[78:79], a[14:15], v[68:71]// 00000000551C: D3F30044 1D121D4E
	buffer_load_dwordx4 a[32:35], v38, s[84:87], 0 offen       // 000000005524: E05C1000 80952026
	buffer_load_dwordx4 a[36:39], v38, s[84:87], 0 offen offset:1024// 00000000552C: E05C1400 80952426
	buffer_load_dwordx4 a[40:43], v39, s[84:87], 0 offen       // 000000005534: E05C1000 80952827
	buffer_load_dwordx4 a[44:47], v39, s[84:87], 0 offen offset:1024// 00000000553C: E05C1400 80952C27
	s_add_u32 s84, s83, s84                                    // 000000005544: 80545453
	s_addc_u32 s85, 0, s85                                     // 000000005548: 82555580
	s_addk_i32 s80, 0x80                                       // 00000000554C: B7500080
	s_cmp_lt_i32 s80, s81                                      // 000000005550: BF045150
	s_cbranch_scc0 label_0BE0                                  // 000000005554: BF840107
	s_waitcnt vmcnt(10) lgkmcnt(0)                             // 000000005558: BF8C007A
	v_mfma_f32_16x16x32_fp8_fp8 v[40:43], a[80:81], a[0:1], v[40:43]// 00000000555C: D3F30028 1CA20150
	buffer_load_dwordx4 a[48:51], v36, s[24:27], 0 offen       // 000000005564: E05C1000 80863024
	v_mfma_f32_16x16x32_fp8_fp8 v[40:43], a[82:83], a[2:3], v[40:43]// 00000000556C: D3F30028 1CA20552
	v_mfma_f32_16x16x32_fp8_fp8 v[40:43], a[84:85], a[4:5], v[40:43]// 000000005574: D3F30028 1CA20954
	v_mfma_f32_16x16x32_fp8_fp8 v[40:43], a[86:87], a[6:7], v[40:43]// 00000000557C: D3F30028 1CA20D56
	v_mfma_f32_16x16x32_fp8_fp8 v[44:47], a[88:89], a[0:1], v[44:47]// 000000005584: D3F3002C 1CB20158
	buffer_load_dwordx4 a[52:55], v36, s[24:27], 0 offen offset:1024// 00000000558C: E05C1400 80863424
	v_mfma_f32_16x16x32_fp8_fp8 v[44:47], a[90:91], a[2:3], v[44:47]// 000000005594: D3F3002C 1CB2055A
	v_mfma_f32_16x16x32_fp8_fp8 v[44:47], a[92:93], a[4:5], v[44:47]// 00000000559C: D3F3002C 1CB2095C
	v_mfma_f32_16x16x32_fp8_fp8 v[44:47], a[94:95], a[6:7], v[44:47]// 0000000055A4: D3F3002C 1CB20D5E
	v_mfma_f32_16x16x32_fp8_fp8 v[48:51], a[96:97], a[0:1], v[48:51]// 0000000055AC: D3F30030 1CC20160
	buffer_load_dwordx4 a[56:59], v37, s[24:27], 0 offen       // 0000000055B4: E05C1000 80863825
	v_mfma_f32_16x16x32_fp8_fp8 v[48:51], a[98:99], a[2:3], v[48:51]// 0000000055BC: D3F30030 1CC20562
	v_mfma_f32_16x16x32_fp8_fp8 v[48:51], a[100:101], a[4:5], v[48:51]// 0000000055C4: D3F30030 1CC20964
	v_mfma_f32_16x16x32_fp8_fp8 v[48:51], a[102:103], a[6:7], v[48:51]// 0000000055CC: D3F30030 1CC20D66
	v_mfma_f32_16x16x32_fp8_fp8 v[52:55], a[104:105], a[0:1], v[52:55]// 0000000055D4: D3F30034 1CD20168
	buffer_load_dwordx4 a[60:63], v37, s[24:27], 0 offen offset:1024// 0000000055DC: E05C1400 80863C25
	v_mfma_f32_16x16x32_fp8_fp8 v[52:55], a[106:107], a[2:3], v[52:55]// 0000000055E4: D3F30034 1CD2056A
	v_mfma_f32_16x16x32_fp8_fp8 v[52:55], a[108:109], a[4:5], v[52:55]// 0000000055EC: D3F30034 1CD2096C
	v_mfma_f32_16x16x32_fp8_fp8 v[52:55], a[110:111], a[6:7], v[52:55]// 0000000055F4: D3F30034 1CD20D6E
	buffer_load_dwordx4 a[64:67], v38, s[24:27], 0 offen       // 0000000055FC: E05C1000 80864026
	buffer_load_dwordx4 a[68:71], v38, s[24:27], 0 offen offset:1024// 000000005604: E05C1400 80864426
	buffer_load_dwordx4 a[72:75], v39, s[24:27], 0 offen       // 00000000560C: E05C1000 80864827
	buffer_load_dwordx4 a[76:79], v39, s[24:27], 0 offen offset:1024// 000000005614: E05C1400 80864C27
	buffer_load_dword v34, s[20:23], 0 offen lds               // 00000000561C: E0511000 80050022
	s_add_u32 m0, 0x100, s48                                   // 000000005624: 807C30FF 00000100
	buffer_load_dword v35, s[20:23], 0 offen lds               // 00000000562C: E0511000 80050023
	s_add_u32 m0, 0, s49                                       // 000000005634: 807C3180
	s_waitcnt vmcnt(10)                                        // 000000005638: BF8C0F7A
	s_barrier                                                  // 00000000563C: BF8A0000
	v_mfma_f32_16x16x32_fp8_fp8 v[56:59], a[16:17], a[0:1], v[56:59]// 000000005640: D3F30038 1CE20110
	buffer_load_dwordx4 a[80:83], v36, s[84:87], 0 offen       // 000000005648: E05C1000 80955024
	v_mfma_f32_16x16x32_fp8_fp8 v[56:59], a[18:19], a[2:3], v[56:59]// 000000005650: D3F30038 1CE20512
	v_mfma_f32_16x16x32_fp8_fp8 v[56:59], a[20:21], a[4:5], v[56:59]// 000000005658: D3F30038 1CE20914
	ds_read_b128 a[8:11], v2 offset:4352                       // 000000005660: DBFE1100 08000002
	ds_read_b128 a[12:15], v2 offset:4416                      // 000000005668: DBFE1140 0C000002
	v_mfma_f32_16x16x32_fp8_fp8 v[56:59], a[22:23], a[6:7], v[56:59]// 000000005670: D3F30038 1CE20D16
	v_mfma_f32_16x16x32_fp8_fp8 v[60:63], a[24:25], a[0:1], v[60:63]// 000000005678: D3F3003C 1CF20118
	buffer_load_dwordx4 a[84:87], v36, s[84:87], 0 offen offset:1024// 000000005680: E05C1400 80955424
	v_mfma_f32_16x16x32_fp8_fp8 v[60:63], a[26:27], a[2:3], v[60:63]// 000000005688: D3F3003C 1CF2051A
	v_mfma_f32_16x16x32_fp8_fp8 v[60:63], a[28:29], a[4:5], v[60:63]// 000000005690: D3F3003C 1CF2091C
	v_mfma_f32_16x16x32_fp8_fp8 v[60:63], a[30:31], a[6:7], v[60:63]// 000000005698: D3F3003C 1CF20D1E
	v_mfma_f32_16x16x32_fp8_fp8 v[64:67], a[32:33], a[0:1], v[64:67]// 0000000056A0: D3F30040 1D020120
	buffer_load_dwordx4 a[88:91], v37, s[84:87], 0 offen       // 0000000056A8: E05C1000 80955825
	s_add_u32 s60, 0x180, s80                                  // 0000000056B0: 803C50FF 00000180
	s_cmp_lt_u32 s60, s81                                      // 0000000056B8: BF0A513C
	s_cselect_b32 s57, s57, 0                                  // 0000000056BC: 85398039
	v_mfma_f32_16x16x32_fp8_fp8 v[64:67], a[34:35], a[2:3], v[64:67]// 0000000056C0: D3F30040 1D020522
	s_add_u32 s60, 0x100, s80                                  // 0000000056C8: 803C50FF 00000100
	s_cmp_lt_u32 s60, s81                                      // 0000000056D0: BF0A513C
	s_cselect_b32 s58, s58, 0                                  // 0000000056D4: 853A803A
	v_mfma_f32_16x16x32_fp8_fp8 v[64:67], a[36:37], a[4:5], v[64:67]// 0000000056D8: D3F30040 1D020924
	s_add_u32 s60, 0x100, s80                                  // 0000000056E0: 803C50FF 00000100
	s_cmp_lt_u32 s60, s81                                      // 0000000056E8: BF0A513C
	s_cselect_b32 s83, s83, 0                                  // 0000000056EC: 85538053
	v_mfma_f32_16x16x32_fp8_fp8 v[64:67], a[38:39], a[6:7], v[64:67]// 0000000056F0: D3F30040 1D020D26
	s_add_u32 s24, s58, s24                                    // 0000000056F8: 8018183A
	s_addc_u32 s25, 0, s25                                     // 0000000056FC: 82191980
	v_mfma_f32_16x16x32_fp8_fp8 v[68:71], a[40:41], a[0:1], v[68:71]// 000000005700: D3F30044 1D120128
	buffer_load_dwordx4 a[92:95], v37, s[84:87], 0 offen offset:1024// 000000005708: E05C1400 80955C25
	s_add_u32 s20, s57, s20                                    // 000000005710: 80141439
	s_addc_u32 s21, 0, s21                                     // 000000005714: 82151580
	v_mfma_f32_16x16x32_fp8_fp8 v[68:71], a[42:43], a[2:3], v[68:71]// 000000005718: D3F30044 1D12052A
	v_mfma_f32_16x16x32_fp8_fp8 v[68:71], a[44:45], a[4:5], v[68:71]// 000000005720: D3F30044 1D12092C
	v_mfma_f32_16x16x32_fp8_fp8 v[68:71], a[46:47], a[6:7], v[68:71]// 000000005728: D3F30044 1D120D2E
	buffer_load_dwordx4 a[96:99], v38, s[84:87], 0 offen       // 000000005730: E05C1000 80956026
	buffer_load_dwordx4 a[100:103], v38, s[84:87], 0 offen offset:1024// 000000005738: E05C1400 80956426
	buffer_load_dwordx4 a[104:107], v39, s[84:87], 0 offen     // 000000005740: E05C1000 80956827
	buffer_load_dwordx4 a[108:111], v39, s[84:87], 0 offen offset:1024// 000000005748: E05C1400 80956C27
	s_add_u32 s84, s83, s84                                    // 000000005750: 80545453
	s_addc_u32 s85, 0, s85                                     // 000000005754: 82555580
	s_addk_i32 s80, 0x80                                       // 000000005758: B7500080
	s_cmp_lt_i32 s80, s81                                      // 00000000575C: BF045150
	s_cbranch_scc0 label_0BE0                                  // 000000005760: BF840084
	s_waitcnt vmcnt(10) lgkmcnt(0)                             // 000000005764: BF8C007A
	v_mfma_f32_16x16x32_fp8_fp8 v[40:43], a[48:49], a[8:9], v[40:43]// 000000005768: D3F30028 1CA21130
	buffer_load_dwordx4 a[16:19], v36, s[24:27], 0 offen       // 000000005770: E05C1000 80861024
	v_mfma_f32_16x16x32_fp8_fp8 v[40:43], a[50:51], a[10:11], v[40:43]// 000000005778: D3F30028 1CA21532
	v_mfma_f32_16x16x32_fp8_fp8 v[40:43], a[52:53], a[12:13], v[40:43]// 000000005780: D3F30028 1CA21934
	v_mfma_f32_16x16x32_fp8_fp8 v[40:43], a[54:55], a[14:15], v[40:43]// 000000005788: D3F30028 1CA21D36
	v_mfma_f32_16x16x32_fp8_fp8 v[44:47], a[56:57], a[8:9], v[44:47]// 000000005790: D3F3002C 1CB21138
	buffer_load_dwordx4 a[20:23], v36, s[24:27], 0 offen offset:1024// 000000005798: E05C1400 80861424
	v_mfma_f32_16x16x32_fp8_fp8 v[44:47], a[58:59], a[10:11], v[44:47]// 0000000057A0: D3F3002C 1CB2153A
	v_mfma_f32_16x16x32_fp8_fp8 v[44:47], a[60:61], a[12:13], v[44:47]// 0000000057A8: D3F3002C 1CB2193C
	v_mfma_f32_16x16x32_fp8_fp8 v[44:47], a[62:63], a[14:15], v[44:47]// 0000000057B0: D3F3002C 1CB21D3E
	v_mfma_f32_16x16x32_fp8_fp8 v[48:51], a[64:65], a[8:9], v[48:51]// 0000000057B8: D3F30030 1CC21140
	buffer_load_dwordx4 a[24:27], v37, s[24:27], 0 offen       // 0000000057C0: E05C1000 80861825
	v_mfma_f32_16x16x32_fp8_fp8 v[48:51], a[66:67], a[10:11], v[48:51]// 0000000057C8: D3F30030 1CC21542
	v_mfma_f32_16x16x32_fp8_fp8 v[48:51], a[68:69], a[12:13], v[48:51]// 0000000057D0: D3F30030 1CC21944
	v_mfma_f32_16x16x32_fp8_fp8 v[48:51], a[70:71], a[14:15], v[48:51]// 0000000057D8: D3F30030 1CC21D46
	v_mfma_f32_16x16x32_fp8_fp8 v[52:55], a[72:73], a[8:9], v[52:55]// 0000000057E0: D3F30034 1CD21148
	buffer_load_dwordx4 a[28:31], v37, s[24:27], 0 offen offset:1024// 0000000057E8: E05C1400 80861C25
	v_mfma_f32_16x16x32_fp8_fp8 v[52:55], a[74:75], a[10:11], v[52:55]// 0000000057F0: D3F30034 1CD2154A
	v_mfma_f32_16x16x32_fp8_fp8 v[52:55], a[76:77], a[12:13], v[52:55]// 0000000057F8: D3F30034 1CD2194C
	v_mfma_f32_16x16x32_fp8_fp8 v[52:55], a[78:79], a[14:15], v[52:55]// 000000005800: D3F30034 1CD21D4E
	buffer_load_dwordx4 a[32:35], v38, s[24:27], 0 offen       // 000000005808: E05C1000 80862026
	buffer_load_dwordx4 a[36:39], v38, s[24:27], 0 offen offset:1024// 000000005810: E05C1400 80862426
	buffer_load_dwordx4 a[40:43], v39, s[24:27], 0 offen       // 000000005818: E05C1000 80862827
	buffer_load_dwordx4 a[44:47], v39, s[24:27], 0 offen offset:1024// 000000005820: E05C1400 80862C27
	buffer_load_dword v34, s[20:23], 0 offen lds               // 000000005828: E0511000 80050022
	s_add_u32 m0, 0x100, s49                                   // 000000005830: 807C31FF 00000100
	buffer_load_dword v35, s[20:23], 0 offen lds               // 000000005838: E0511000 80050023
	s_add_u32 m0, 0, s50                                       // 000000005840: 807C3280
	s_waitcnt vmcnt(10)                                        // 000000005844: BF8C0F7A
	s_barrier                                                  // 000000005848: BF8A0000
	v_mfma_f32_16x16x32_fp8_fp8 v[56:59], a[80:81], a[8:9], v[56:59]// 00000000584C: D3F30038 1CE21150
	buffer_load_dwordx4 a[48:51], v36, s[84:87], 0 offen       // 000000005854: E05C1000 80953024
	v_mfma_f32_16x16x32_fp8_fp8 v[56:59], a[82:83], a[10:11], v[56:59]// 00000000585C: D3F30038 1CE21552
	v_mfma_f32_16x16x32_fp8_fp8 v[56:59], a[84:85], a[12:13], v[56:59]// 000000005864: D3F30038 1CE21954
	ds_read_b128 a[0:3], v2                                    // 00000000586C: DBFE0000 00000002
	ds_read_b128 a[4:7], v2 offset:64                          // 000000005874: DBFE0040 04000002
	v_mfma_f32_16x16x32_fp8_fp8 v[56:59], a[86:87], a[14:15], v[56:59]// 00000000587C: D3F30038 1CE21D56
	v_mfma_f32_16x16x32_fp8_fp8 v[60:63], a[88:89], a[8:9], v[60:63]// 000000005884: D3F3003C 1CF21158
	buffer_load_dwordx4 a[52:55], v36, s[84:87], 0 offen offset:1024// 00000000588C: E05C1400 80953424
	v_mfma_f32_16x16x32_fp8_fp8 v[60:63], a[90:91], a[10:11], v[60:63]// 000000005894: D3F3003C 1CF2155A
	v_mfma_f32_16x16x32_fp8_fp8 v[60:63], a[92:93], a[12:13], v[60:63]// 00000000589C: D3F3003C 1CF2195C
	v_mfma_f32_16x16x32_fp8_fp8 v[60:63], a[94:95], a[14:15], v[60:63]// 0000000058A4: D3F3003C 1CF21D5E
	v_mfma_f32_16x16x32_fp8_fp8 v[64:67], a[96:97], a[8:9], v[64:67]// 0000000058AC: D3F30040 1D021160
	buffer_load_dwordx4 a[56:59], v37, s[84:87], 0 offen       // 0000000058B4: E05C1000 80953825
	s_add_u32 s60, 0x180, s80                                  // 0000000058BC: 803C50FF 00000180
	s_cmp_lt_u32 s60, s81                                      // 0000000058C4: BF0A513C
	s_cselect_b32 s57, s57, 0                                  // 0000000058C8: 85398039
	v_mfma_f32_16x16x32_fp8_fp8 v[64:67], a[98:99], a[10:11], v[64:67]// 0000000058CC: D3F30040 1D021562
	s_add_u32 s60, 0x100, s80                                  // 0000000058D4: 803C50FF 00000100
	s_cmp_lt_u32 s60, s81                                      // 0000000058DC: BF0A513C
	s_cselect_b32 s58, s58, 0                                  // 0000000058E0: 853A803A
	v_mfma_f32_16x16x32_fp8_fp8 v[64:67], a[100:101], a[12:13], v[64:67]// 0000000058E4: D3F30040 1D021964
	s_add_u32 s60, 0x100, s80                                  // 0000000058EC: 803C50FF 00000100
	s_cmp_lt_u32 s60, s81                                      // 0000000058F4: BF0A513C
	s_cselect_b32 s83, s83, 0                                  // 0000000058F8: 85538053
	v_mfma_f32_16x16x32_fp8_fp8 v[64:67], a[102:103], a[14:15], v[64:67]// 0000000058FC: D3F30040 1D021D66
	s_add_u32 s24, s58, s24                                    // 000000005904: 8018183A
	s_addc_u32 s25, 0, s25                                     // 000000005908: 82191980
	v_mfma_f32_16x16x32_fp8_fp8 v[68:71], a[104:105], a[8:9], v[68:71]// 00000000590C: D3F30044 1D121168
	buffer_load_dwordx4 a[60:63], v37, s[84:87], 0 offen offset:1024// 000000005914: E05C1400 80953C25
	s_add_u32 s20, s57, s20                                    // 00000000591C: 80141439
	s_addc_u32 s21, 0, s21                                     // 000000005920: 82151580
	v_mfma_f32_16x16x32_fp8_fp8 v[68:71], a[106:107], a[10:11], v[68:71]// 000000005924: D3F30044 1D12156A
	v_mfma_f32_16x16x32_fp8_fp8 v[68:71], a[108:109], a[12:13], v[68:71]// 00000000592C: D3F30044 1D12196C
	v_mfma_f32_16x16x32_fp8_fp8 v[68:71], a[110:111], a[14:15], v[68:71]// 000000005934: D3F30044 1D121D6E
	buffer_load_dwordx4 a[64:67], v38, s[84:87], 0 offen       // 00000000593C: E05C1000 80954026
	buffer_load_dwordx4 a[68:71], v38, s[84:87], 0 offen offset:1024// 000000005944: E05C1400 80954426
	buffer_load_dwordx4 a[72:75], v39, s[84:87], 0 offen       // 00000000594C: E05C1000 80954827
	buffer_load_dwordx4 a[76:79], v39, s[84:87], 0 offen offset:1024// 000000005954: E05C1400 80954C27
	s_add_u32 s84, s83, s84                                    // 00000000595C: 80545453
	s_addc_u32 s85, 0, s85                                     // 000000005960: 82555580
	s_addk_i32 s80, 0x80                                       // 000000005964: B7500080
	s_cmp_lt_i32 s80, s81                                      // 000000005968: BF045150
	s_cbranch_scc0 label_0BE0                                  // 00000000596C: BF840001
	s_branch label_08CD                                        // 000000005970: BF82FCED

0000000000005974 <label_0BE0>:
	v_mul_f32_dpp v40, v24, v40 row_newbcast:0 row_mask:0xf bank_mask:0xf// 000000005974: 0A5050FA FF015018
	v_mul_f32_dpp v41, v24, v41 row_newbcast:1 row_mask:0xf bank_mask:0xf// 00000000597C: 0A5252FA FF015118
	v_mul_f32_dpp v42, v24, v42 row_newbcast:2 row_mask:0xf bank_mask:0xf// 000000005984: 0A5454FA FF015218
	v_mul_f32_dpp v43, v24, v43 row_newbcast:3 row_mask:0xf bank_mask:0xf// 00000000598C: 0A5656FA FF015318
	v_mul_f32_dpp v44, v24, v44 row_newbcast:4 row_mask:0xf bank_mask:0xf// 000000005994: 0A5858FA FF015418
	v_mul_f32_dpp v45, v24, v45 row_newbcast:5 row_mask:0xf bank_mask:0xf// 00000000599C: 0A5A5AFA FF015518
	v_mul_f32_dpp v46, v24, v46 row_newbcast:6 row_mask:0xf bank_mask:0xf// 0000000059A4: 0A5C5CFA FF015618
	v_mul_f32_dpp v47, v24, v47 row_newbcast:7 row_mask:0xf bank_mask:0xf// 0000000059AC: 0A5E5EFA FF015718
	v_mul_f32_dpp v48, v24, v48 row_newbcast:8 row_mask:0xf bank_mask:0xf// 0000000059B4: 0A6060FA FF015818
	v_mul_f32_dpp v49, v24, v49 row_newbcast:9 row_mask:0xf bank_mask:0xf// 0000000059BC: 0A6262FA FF015918
	v_mul_f32_dpp v50, v24, v50 row_newbcast:10 row_mask:0xf bank_mask:0xf// 0000000059C4: 0A6464FA FF015A18
	v_mul_f32_dpp v51, v24, v51 row_newbcast:11 row_mask:0xf bank_mask:0xf// 0000000059CC: 0A6666FA FF015B18
	v_mul_f32_dpp v52, v24, v52 row_newbcast:12 row_mask:0xf bank_mask:0xf// 0000000059D4: 0A6868FA FF015C18
	v_mul_f32_dpp v53, v24, v53 row_newbcast:13 row_mask:0xf bank_mask:0xf// 0000000059DC: 0A6A6AFA FF015D18
	v_mul_f32_dpp v54, v24, v54 row_newbcast:14 row_mask:0xf bank_mask:0xf// 0000000059E4: 0A6C6CFA FF015E18
	v_mul_f32_dpp v55, v24, v55 row_newbcast:15 row_mask:0xf bank_mask:0xf// 0000000059EC: 0A6E6EFA FF015F18
	v_mul_f32_dpp v56, v27, v56 row_newbcast:0 row_mask:0xf bank_mask:0xf// 0000000059F4: 0A7070FA FF01501B
	v_mul_f32_dpp v57, v27, v57 row_newbcast:1 row_mask:0xf bank_mask:0xf// 0000000059FC: 0A7272FA FF01511B
	v_mul_f32_dpp v58, v27, v58 row_newbcast:2 row_mask:0xf bank_mask:0xf// 000000005A04: 0A7474FA FF01521B
	v_mul_f32_dpp v59, v27, v59 row_newbcast:3 row_mask:0xf bank_mask:0xf// 000000005A0C: 0A7676FA FF01531B
	v_mul_f32_dpp v60, v27, v60 row_newbcast:4 row_mask:0xf bank_mask:0xf// 000000005A14: 0A7878FA FF01541B
	v_mul_f32_dpp v61, v27, v61 row_newbcast:5 row_mask:0xf bank_mask:0xf// 000000005A1C: 0A7A7AFA FF01551B
	v_mul_f32_dpp v62, v27, v62 row_newbcast:6 row_mask:0xf bank_mask:0xf// 000000005A24: 0A7C7CFA FF01561B
	v_mul_f32_dpp v63, v27, v63 row_newbcast:7 row_mask:0xf bank_mask:0xf// 000000005A2C: 0A7E7EFA FF01571B
	v_mul_f32_dpp v64, v27, v64 row_newbcast:8 row_mask:0xf bank_mask:0xf// 000000005A34: 0A8080FA FF01581B
	v_mul_f32_dpp v65, v27, v65 row_newbcast:9 row_mask:0xf bank_mask:0xf// 000000005A3C: 0A8282FA FF01591B
	v_mul_f32_dpp v66, v27, v66 row_newbcast:10 row_mask:0xf bank_mask:0xf// 000000005A44: 0A8484FA FF015A1B
	v_mul_f32_dpp v67, v27, v67 row_newbcast:11 row_mask:0xf bank_mask:0xf// 000000005A4C: 0A8686FA FF015B1B
	v_mul_f32_dpp v68, v27, v68 row_newbcast:12 row_mask:0xf bank_mask:0xf// 000000005A54: 0A8888FA FF015C1B
	v_mul_f32_dpp v69, v27, v69 row_newbcast:13 row_mask:0xf bank_mask:0xf// 000000005A5C: 0A8A8AFA FF015D1B
	v_mul_f32_dpp v70, v27, v70 row_newbcast:14 row_mask:0xf bank_mask:0xf// 000000005A64: 0A8C8CFA FF015E1B
	v_mul_f32_dpp v71, v27, v71 row_newbcast:15 row_mask:0xf bank_mask:0xf// 000000005A6C: 0A8E8EFA FF015F1B
	v_mul_f32_e32 v31, v31, v72                                // 000000005A74: 0A3E911F
	v_mov_b32_e32 v4, v31                                      // 000000005A78: 7E08031F
	v_mov_b32_e32 v5, v4                                       // 000000005A7C: 7E0A0304
	v_pk_mul_f32 v[40:41], v[4:5], v[40:41]                    // 000000005A80: D3B14028 18025104
	v_pk_mul_f32 v[56:57], v[4:5], v[56:57]                    // 000000005A88: D3B14038 18027104
	v_pk_mul_f32 v[42:43], v[4:5], v[42:43]                    // 000000005A90: D3B1402A 18025504
	v_pk_mul_f32 v[58:59], v[4:5], v[58:59]                    // 000000005A98: D3B1403A 18027504
	v_pk_mul_f32 v[44:45], v[4:5], v[44:45]                    // 000000005AA0: D3B1402C 18025904
	v_pk_mul_f32 v[60:61], v[4:5], v[60:61]                    // 000000005AA8: D3B1403C 18027904
	v_pk_mul_f32 v[46:47], v[4:5], v[46:47]                    // 000000005AB0: D3B1402E 18025D04
	v_pk_mul_f32 v[62:63], v[4:5], v[62:63]                    // 000000005AB8: D3B1403E 18027D04
	v_pk_mul_f32 v[48:49], v[4:5], v[48:49]                    // 000000005AC0: D3B14030 18026104
	v_pk_mul_f32 v[64:65], v[4:5], v[64:65]                    // 000000005AC8: D3B14040 18028104
	v_pk_mul_f32 v[50:51], v[4:5], v[50:51]                    // 000000005AD0: D3B14032 18026504
	v_pk_mul_f32 v[66:67], v[4:5], v[66:67]                    // 000000005AD8: D3B14042 18028504
	v_pk_mul_f32 v[52:53], v[4:5], v[52:53]                    // 000000005AE0: D3B14034 18026904
	v_pk_mul_f32 v[68:69], v[4:5], v[68:69]                    // 000000005AE8: D3B14044 18028904
	v_pk_mul_f32 v[54:55], v[4:5], v[54:55]                    // 000000005AF0: D3B14036 18026D04
	v_pk_mul_f32 v[70:71], v[4:5], v[70:71]                    // 000000005AF8: D3B14046 18028D04
	s_cmp_eq_u32 s88, 0                                        // 000000005B00: BF068058
	s_cbranch_scc0 label_0E6A                                  // 000000005B04: BF840225
	s_cmp_eq_u32 s89, 0                                        // 000000005B08: BF068059
	s_cbranch_scc1 label_0CEC                                  // 000000005B0C: BF8500A5
	v_mov_b32_e32 v8, v1                                       // 000000005B10: 7E100301
	v_mov_b32_e32 v9, v1                                       // 000000005B14: 7E120301
	s_mov_b32 s60, s6                                          // 000000005B18: BEBC0006
	s_mov_b32 s61, s6                                          // 000000005B1C: BEBD0006
	v_pk_mul_f32 v[4:5], v[40:41], v[40:41]                    // 000000005B20: D3B14004 18025128
	v_pk_mul_f32 v[6:7], v[42:43], v[42:43]                    // 000000005B28: D3B14006 1802552A
	v_pk_fma_f32 v[4:5], v[4:5], s[78:79], v[8:9]              // 000000005B30: D3B04004 1C209D04
	v_pk_fma_f32 v[6:7], v[6:7], s[78:79], v[8:9]              // 000000005B38: D3B04006 1C209D06
	v_pk_mul_f32 v[4:5], v[4:5], v[40:41]                      // 000000005B40: D3B14004 18025104
	v_pk_mul_f32 v[6:7], v[6:7], v[42:43]                      // 000000005B48: D3B14006 18025506
	v_pk_mul_f32 v[4:5], v[4:5], s[60:61]                      // 000000005B50: D3B14004 18007904
	v_pk_mul_f32 v[6:7], v[6:7], s[60:61]                      // 000000005B58: D3B14006 18007906
	v_exp_f32_e32 v4, v4                                       // 000000005B60: 7E084104
	v_exp_f32_e32 v5, v5                                       // 000000005B64: 7E0A4105
	v_exp_f32_e32 v6, v6                                       // 000000005B68: 7E0C4106
	v_exp_f32_e32 v7, v7                                       // 000000005B6C: 7E0E4107
	v_add_f32_e64 v4, v4, 1.0                                  // 000000005B70: D1010004 0001E504
	v_add_f32_e64 v5, v5, 1.0                                  // 000000005B78: D1010005 0001E505
	v_add_f32_e64 v6, v6, 1.0                                  // 000000005B80: D1010006 0001E506
	v_add_f32_e64 v7, v7, 1.0                                  // 000000005B88: D1010007 0001E507
	v_rcp_f32_e32 v4, v4                                       // 000000005B90: 7E084504
	v_rcp_f32_e32 v5, v5                                       // 000000005B94: 7E0A4505
	v_rcp_f32_e32 v6, v6                                       // 000000005B98: 7E0C4506
	v_rcp_f32_e32 v7, v7                                       // 000000005B9C: 7E0E4507
	v_mul_f32_e32 v40, v40, v4                                 // 000000005BA0: 0A500928
	v_mul_f32_e32 v41, v41, v5                                 // 000000005BA4: 0A520B29
	v_mul_f32_e32 v42, v42, v6                                 // 000000005BA8: 0A540D2A
	v_mul_f32_e32 v43, v43, v7                                 // 000000005BAC: 0A560F2B
	v_mul_f32_e32 v40, v40, v56                                // 000000005BB0: 0A507128
	v_mul_f32_e32 v41, v41, v57                                // 000000005BB4: 0A527329
	v_mul_f32_e32 v42, v42, v58                                // 000000005BB8: 0A54752A
	v_mul_f32_e32 v43, v43, v59                                // 000000005BBC: 0A56772B
	v_pk_mul_f32 v[4:5], v[44:45], v[44:45]                    // 000000005BC0: D3B14004 1802592C
	v_pk_mul_f32 v[6:7], v[46:47], v[46:47]                    // 000000005BC8: D3B14006 18025D2E
	v_pk_fma_f32 v[4:5], v[4:5], s[78:79], v[8:9]              // 000000005BD0: D3B04004 1C209D04
	v_pk_fma_f32 v[6:7], v[6:7], s[78:79], v[8:9]              // 000000005BD8: D3B04006 1C209D06
	v_pk_mul_f32 v[4:5], v[4:5], v[44:45]                      // 000000005BE0: D3B14004 18025904
	v_pk_mul_f32 v[6:7], v[6:7], v[46:47]                      // 000000005BE8: D3B14006 18025D06
	v_pk_mul_f32 v[4:5], v[4:5], s[60:61]                      // 000000005BF0: D3B14004 18007904
	v_pk_mul_f32 v[6:7], v[6:7], s[60:61]                      // 000000005BF8: D3B14006 18007906
	v_exp_f32_e32 v4, v4                                       // 000000005C00: 7E084104
	v_exp_f32_e32 v5, v5                                       // 000000005C04: 7E0A4105
	v_exp_f32_e32 v6, v6                                       // 000000005C08: 7E0C4106
	v_exp_f32_e32 v7, v7                                       // 000000005C0C: 7E0E4107
	v_add_f32_e64 v4, v4, 1.0                                  // 000000005C10: D1010004 0001E504
	v_add_f32_e64 v5, v5, 1.0                                  // 000000005C18: D1010005 0001E505
	v_add_f32_e64 v6, v6, 1.0                                  // 000000005C20: D1010006 0001E506
	v_add_f32_e64 v7, v7, 1.0                                  // 000000005C28: D1010007 0001E507
	v_rcp_f32_e32 v4, v4                                       // 000000005C30: 7E084504
	v_rcp_f32_e32 v5, v5                                       // 000000005C34: 7E0A4505
	v_rcp_f32_e32 v6, v6                                       // 000000005C38: 7E0C4506
	v_rcp_f32_e32 v7, v7                                       // 000000005C3C: 7E0E4507
	v_mul_f32_e32 v44, v44, v4                                 // 000000005C40: 0A58092C
	v_mul_f32_e32 v45, v45, v5                                 // 000000005C44: 0A5A0B2D
	v_mul_f32_e32 v46, v46, v6                                 // 000000005C48: 0A5C0D2E
	v_mul_f32_e32 v47, v47, v7                                 // 000000005C4C: 0A5E0F2F
	v_mul_f32_e32 v44, v44, v60                                // 000000005C50: 0A58792C
	v_mul_f32_e32 v45, v45, v61                                // 000000005C54: 0A5A7B2D
	v_mul_f32_e32 v46, v46, v62                                // 000000005C58: 0A5C7D2E
	v_mul_f32_e32 v47, v47, v63                                // 000000005C5C: 0A5E7F2F
	v_pk_mul_f32 v[4:5], v[48:49], v[48:49]                    // 000000005C60: D3B14004 18026130
	v_pk_mul_f32 v[6:7], v[50:51], v[50:51]                    // 000000005C68: D3B14006 18026532
	v_pk_fma_f32 v[4:5], v[4:5], s[78:79], v[8:9]              // 000000005C70: D3B04004 1C209D04
	v_pk_fma_f32 v[6:7], v[6:7], s[78:79], v[8:9]              // 000000005C78: D3B04006 1C209D06
	v_pk_mul_f32 v[4:5], v[4:5], v[48:49]                      // 000000005C80: D3B14004 18026104
	v_pk_mul_f32 v[6:7], v[6:7], v[50:51]                      // 000000005C88: D3B14006 18026506
	v_pk_mul_f32 v[4:5], v[4:5], s[60:61]                      // 000000005C90: D3B14004 18007904
	v_pk_mul_f32 v[6:7], v[6:7], s[60:61]                      // 000000005C98: D3B14006 18007906
	v_exp_f32_e32 v4, v4                                       // 000000005CA0: 7E084104
	v_exp_f32_e32 v5, v5                                       // 000000005CA4: 7E0A4105
	v_exp_f32_e32 v6, v6                                       // 000000005CA8: 7E0C4106
	v_exp_f32_e32 v7, v7                                       // 000000005CAC: 7E0E4107
	v_add_f32_e64 v4, v4, 1.0                                  // 000000005CB0: D1010004 0001E504
	v_add_f32_e64 v5, v5, 1.0                                  // 000000005CB8: D1010005 0001E505
	v_add_f32_e64 v6, v6, 1.0                                  // 000000005CC0: D1010006 0001E506
	v_add_f32_e64 v7, v7, 1.0                                  // 000000005CC8: D1010007 0001E507
	v_rcp_f32_e32 v4, v4                                       // 000000005CD0: 7E084504
	v_rcp_f32_e32 v5, v5                                       // 000000005CD4: 7E0A4505
	v_rcp_f32_e32 v6, v6                                       // 000000005CD8: 7E0C4506
	v_rcp_f32_e32 v7, v7                                       // 000000005CDC: 7E0E4507
	v_mul_f32_e32 v48, v48, v4                                 // 000000005CE0: 0A600930
	v_mul_f32_e32 v49, v49, v5                                 // 000000005CE4: 0A620B31
	v_mul_f32_e32 v50, v50, v6                                 // 000000005CE8: 0A640D32
	v_mul_f32_e32 v51, v51, v7                                 // 000000005CEC: 0A660F33
	v_mul_f32_e32 v48, v48, v64                                // 000000005CF0: 0A608130
	v_mul_f32_e32 v49, v49, v65                                // 000000005CF4: 0A628331
	v_mul_f32_e32 v50, v50, v66                                // 000000005CF8: 0A648532
	v_mul_f32_e32 v51, v51, v67                                // 000000005CFC: 0A668733
	v_pk_mul_f32 v[4:5], v[52:53], v[52:53]                    // 000000005D00: D3B14004 18026934
	v_pk_mul_f32 v[6:7], v[54:55], v[54:55]                    // 000000005D08: D3B14006 18026D36
	v_pk_fma_f32 v[4:5], v[4:5], s[78:79], v[8:9]              // 000000005D10: D3B04004 1C209D04
	v_pk_fma_f32 v[6:7], v[6:7], s[78:79], v[8:9]              // 000000005D18: D3B04006 1C209D06
	v_pk_mul_f32 v[4:5], v[4:5], v[52:53]                      // 000000005D20: D3B14004 18026904
	v_pk_mul_f32 v[6:7], v[6:7], v[54:55]                      // 000000005D28: D3B14006 18026D06
	v_pk_mul_f32 v[4:5], v[4:5], s[60:61]                      // 000000005D30: D3B14004 18007904
	v_pk_mul_f32 v[6:7], v[6:7], s[60:61]                      // 000000005D38: D3B14006 18007906
	v_exp_f32_e32 v4, v4                                       // 000000005D40: 7E084104
	v_exp_f32_e32 v5, v5                                       // 000000005D44: 7E0A4105
	v_exp_f32_e32 v6, v6                                       // 000000005D48: 7E0C4106
	v_exp_f32_e32 v7, v7                                       // 000000005D4C: 7E0E4107
	v_add_f32_e64 v4, v4, 1.0                                  // 000000005D50: D1010004 0001E504
	v_add_f32_e64 v5, v5, 1.0                                  // 000000005D58: D1010005 0001E505
	v_add_f32_e64 v6, v6, 1.0                                  // 000000005D60: D1010006 0001E506
	v_add_f32_e64 v7, v7, 1.0                                  // 000000005D68: D1010007 0001E507
	v_rcp_f32_e32 v4, v4                                       // 000000005D70: 7E084504
	v_rcp_f32_e32 v5, v5                                       // 000000005D74: 7E0A4505
	v_rcp_f32_e32 v6, v6                                       // 000000005D78: 7E0C4506
	v_rcp_f32_e32 v7, v7                                       // 000000005D7C: 7E0E4507
	v_mul_f32_e32 v52, v52, v4                                 // 000000005D80: 0A680934
	v_mul_f32_e32 v53, v53, v5                                 // 000000005D84: 0A6A0B35
	v_mul_f32_e32 v54, v54, v6                                 // 000000005D88: 0A6C0D36
	v_mul_f32_e32 v55, v55, v7                                 // 000000005D8C: 0A6E0F37
	v_mul_f32_e32 v52, v52, v68                                // 000000005D90: 0A688934
	v_mul_f32_e32 v53, v53, v69                                // 000000005D94: 0A6A8B35
	v_mul_f32_e32 v54, v54, v70                                // 000000005D98: 0A6C8D36
	v_mul_f32_e32 v55, v55, v71                                // 000000005D9C: 0A6E8F37
	s_branch label_0D6C                                        // 000000005DA0: BF820080

0000000000005da4 <label_0CEC>:
	v_mul_f32_e64 v4, -v40, s6                                 // 000000005DA4: D1050004 20000D28
	v_mul_f32_e64 v5, -v41, s6                                 // 000000005DAC: D1050005 20000D29
	v_mul_f32_e64 v6, -v42, s6                                 // 000000005DB4: D1050006 20000D2A
	v_mul_f32_e64 v7, -v43, s6                                 // 000000005DBC: D1050007 20000D2B
	v_exp_f32_e32 v4, v4                                       // 000000005DC4: 7E084104
	v_exp_f32_e32 v5, v5                                       // 000000005DC8: 7E0A4105
	v_exp_f32_e32 v6, v6                                       // 000000005DCC: 7E0C4106
	v_exp_f32_e32 v7, v7                                       // 000000005DD0: 7E0E4107
	v_add_f32_e64 v4, v4, 1.0                                  // 000000005DD4: D1010004 0001E504
	v_add_f32_e64 v5, v5, 1.0                                  // 000000005DDC: D1010005 0001E505
	v_add_f32_e64 v6, v6, 1.0                                  // 000000005DE4: D1010006 0001E506
	v_add_f32_e64 v7, v7, 1.0                                  // 000000005DEC: D1010007 0001E507
	v_rcp_f32_e32 v4, v4                                       // 000000005DF4: 7E084504
	v_rcp_f32_e32 v5, v5                                       // 000000005DF8: 7E0A4505
	v_rcp_f32_e32 v6, v6                                       // 000000005DFC: 7E0C4506
	v_rcp_f32_e32 v7, v7                                       // 000000005E00: 7E0E4507
	v_mul_f32_e32 v40, v40, v4                                 // 000000005E04: 0A500928
	v_mul_f32_e32 v41, v41, v5                                 // 000000005E08: 0A520B29
	v_mul_f32_e32 v42, v42, v6                                 // 000000005E0C: 0A540D2A
	v_mul_f32_e32 v43, v43, v7                                 // 000000005E10: 0A560F2B
	v_mul_f32_e32 v40, v40, v56                                // 000000005E14: 0A507128
	v_mul_f32_e32 v41, v41, v57                                // 000000005E18: 0A527329
	v_mul_f32_e32 v42, v42, v58                                // 000000005E1C: 0A54752A
	v_mul_f32_e32 v43, v43, v59                                // 000000005E20: 0A56772B
	v_mul_f32_e64 v4, -v44, s6                                 // 000000005E24: D1050004 20000D2C
	v_mul_f32_e64 v5, -v45, s6                                 // 000000005E2C: D1050005 20000D2D
	v_mul_f32_e64 v6, -v46, s6                                 // 000000005E34: D1050006 20000D2E
	v_mul_f32_e64 v7, -v47, s6                                 // 000000005E3C: D1050007 20000D2F
	v_exp_f32_e32 v4, v4                                       // 000000005E44: 7E084104
	v_exp_f32_e32 v5, v5                                       // 000000005E48: 7E0A4105
	v_exp_f32_e32 v6, v6                                       // 000000005E4C: 7E0C4106
	v_exp_f32_e32 v7, v7                                       // 000000005E50: 7E0E4107
	v_add_f32_e64 v4, v4, 1.0                                  // 000000005E54: D1010004 0001E504
	v_add_f32_e64 v5, v5, 1.0                                  // 000000005E5C: D1010005 0001E505
	v_add_f32_e64 v6, v6, 1.0                                  // 000000005E64: D1010006 0001E506
	v_add_f32_e64 v7, v7, 1.0                                  // 000000005E6C: D1010007 0001E507
	v_rcp_f32_e32 v4, v4                                       // 000000005E74: 7E084504
	v_rcp_f32_e32 v5, v5                                       // 000000005E78: 7E0A4505
	v_rcp_f32_e32 v6, v6                                       // 000000005E7C: 7E0C4506
	v_rcp_f32_e32 v7, v7                                       // 000000005E80: 7E0E4507
	v_mul_f32_e32 v44, v44, v4                                 // 000000005E84: 0A58092C
	v_mul_f32_e32 v45, v45, v5                                 // 000000005E88: 0A5A0B2D
	v_mul_f32_e32 v46, v46, v6                                 // 000000005E8C: 0A5C0D2E
	v_mul_f32_e32 v47, v47, v7                                 // 000000005E90: 0A5E0F2F
	v_mul_f32_e32 v44, v44, v60                                // 000000005E94: 0A58792C
	v_mul_f32_e32 v45, v45, v61                                // 000000005E98: 0A5A7B2D
	v_mul_f32_e32 v46, v46, v62                                // 000000005E9C: 0A5C7D2E
	v_mul_f32_e32 v47, v47, v63                                // 000000005EA0: 0A5E7F2F
	v_mul_f32_e64 v4, -v48, s6                                 // 000000005EA4: D1050004 20000D30
	v_mul_f32_e64 v5, -v49, s6                                 // 000000005EAC: D1050005 20000D31
	v_mul_f32_e64 v6, -v50, s6                                 // 000000005EB4: D1050006 20000D32
	v_mul_f32_e64 v7, -v51, s6                                 // 000000005EBC: D1050007 20000D33
	v_exp_f32_e32 v4, v4                                       // 000000005EC4: 7E084104
	v_exp_f32_e32 v5, v5                                       // 000000005EC8: 7E0A4105
	v_exp_f32_e32 v6, v6                                       // 000000005ECC: 7E0C4106
	v_exp_f32_e32 v7, v7                                       // 000000005ED0: 7E0E4107
	v_add_f32_e64 v4, v4, 1.0                                  // 000000005ED4: D1010004 0001E504
	v_add_f32_e64 v5, v5, 1.0                                  // 000000005EDC: D1010005 0001E505
	v_add_f32_e64 v6, v6, 1.0                                  // 000000005EE4: D1010006 0001E506
	v_add_f32_e64 v7, v7, 1.0                                  // 000000005EEC: D1010007 0001E507
	v_rcp_f32_e32 v4, v4                                       // 000000005EF4: 7E084504
	v_rcp_f32_e32 v5, v5                                       // 000000005EF8: 7E0A4505
	v_rcp_f32_e32 v6, v6                                       // 000000005EFC: 7E0C4506
	v_rcp_f32_e32 v7, v7                                       // 000000005F00: 7E0E4507
	v_mul_f32_e32 v48, v48, v4                                 // 000000005F04: 0A600930
	v_mul_f32_e32 v49, v49, v5                                 // 000000005F08: 0A620B31
	v_mul_f32_e32 v50, v50, v6                                 // 000000005F0C: 0A640D32
	v_mul_f32_e32 v51, v51, v7                                 // 000000005F10: 0A660F33
	v_mul_f32_e32 v48, v48, v64                                // 000000005F14: 0A608130
	v_mul_f32_e32 v49, v49, v65                                // 000000005F18: 0A628331
	v_mul_f32_e32 v50, v50, v66                                // 000000005F1C: 0A648532
	v_mul_f32_e32 v51, v51, v67                                // 000000005F20: 0A668733
	v_mul_f32_e64 v4, -v52, s6                                 // 000000005F24: D1050004 20000D34
	v_mul_f32_e64 v5, -v53, s6                                 // 000000005F2C: D1050005 20000D35
	v_mul_f32_e64 v6, -v54, s6                                 // 000000005F34: D1050006 20000D36
	v_mul_f32_e64 v7, -v55, s6                                 // 000000005F3C: D1050007 20000D37
	v_exp_f32_e32 v4, v4                                       // 000000005F44: 7E084104
	v_exp_f32_e32 v5, v5                                       // 000000005F48: 7E0A4105
	v_exp_f32_e32 v6, v6                                       // 000000005F4C: 7E0C4106
	v_exp_f32_e32 v7, v7                                       // 000000005F50: 7E0E4107
	v_add_f32_e64 v4, v4, 1.0                                  // 000000005F54: D1010004 0001E504
	v_add_f32_e64 v5, v5, 1.0                                  // 000000005F5C: D1010005 0001E505
	v_add_f32_e64 v6, v6, 1.0                                  // 000000005F64: D1010006 0001E506
	v_add_f32_e64 v7, v7, 1.0                                  // 000000005F6C: D1010007 0001E507
	v_rcp_f32_e32 v4, v4                                       // 000000005F74: 7E084504
	v_rcp_f32_e32 v5, v5                                       // 000000005F78: 7E0A4505
	v_rcp_f32_e32 v6, v6                                       // 000000005F7C: 7E0C4506
	v_rcp_f32_e32 v7, v7                                       // 000000005F80: 7E0E4507
	v_mul_f32_e32 v52, v52, v4                                 // 000000005F84: 0A680934
	v_mul_f32_e32 v53, v53, v5                                 // 000000005F88: 0A6A0B35
	v_mul_f32_e32 v54, v54, v6                                 // 000000005F8C: 0A6C0D36
	v_mul_f32_e32 v55, v55, v7                                 // 000000005F90: 0A6E0F37
	v_mul_f32_e32 v52, v52, v68                                // 000000005F94: 0A688934
	v_mul_f32_e32 v53, v53, v69                                // 000000005F98: 0A6A8B35
	v_mul_f32_e32 v54, v54, v70                                // 000000005F9C: 0A6C8D36
	v_mul_f32_e32 v55, v55, v71                                // 000000005FA0: 0A6E8F37

0000000000005fa4 <label_0D6C>:
	v_cmp_u_f32_e64 s[46:47], v40, v40                         // 000000005FA4: D048002E 00025128
	v_add3_u32 v16, v40, v19, 1                                // 000000005FAC: D1FF0010 02062728
	v_cndmask_b32_e64 v4, v16, v18, s[46:47]                   // 000000005FB4: D1000004 00BA2510
	v_cmp_u_f32_e64 s[46:47], v41, v41                         // 000000005FBC: D048002E 00025329
	v_add3_u32 v16, v41, v19, 1                                // 000000005FC4: D1FF0010 02062729
	v_cndmask_b32_e64 v5, v16, v18, s[46:47]                   // 000000005FCC: D1000005 00BA2510
	v_perm_b32 v40, v5, v4, s52                                // 000000005FD4: D1ED0028 00D20905
	v_cmp_u_f32_e64 s[46:47], v42, v42                         // 000000005FDC: D048002E 0002552A
	v_add3_u32 v16, v42, v19, 1                                // 000000005FE4: D1FF0010 0206272A
	v_cndmask_b32_e64 v4, v16, v18, s[46:47]                   // 000000005FEC: D1000004 00BA2510
	v_cmp_u_f32_e64 s[46:47], v43, v43                         // 000000005FF4: D048002E 0002572B
	v_add3_u32 v16, v43, v19, 1                                // 000000005FFC: D1FF0010 0206272B
	v_cndmask_b32_e64 v5, v16, v18, s[46:47]                   // 000000006004: D1000005 00BA2510
	v_perm_b32 v41, v5, v4, s52                                // 00000000600C: D1ED0029 00D20905
	v_cmp_u_f32_e64 s[46:47], v44, v44                         // 000000006014: D048002E 0002592C
	v_add3_u32 v16, v44, v19, 1                                // 00000000601C: D1FF0010 0206272C
	v_cndmask_b32_e64 v4, v16, v18, s[46:47]                   // 000000006024: D1000004 00BA2510
	v_cmp_u_f32_e64 s[46:47], v45, v45                         // 00000000602C: D048002E 00025B2D
	v_add3_u32 v16, v45, v19, 1                                // 000000006034: D1FF0010 0206272D
	v_cndmask_b32_e64 v5, v16, v18, s[46:47]                   // 00000000603C: D1000005 00BA2510
	v_perm_b32 v42, v5, v4, s52                                // 000000006044: D1ED002A 00D20905
	v_cmp_u_f32_e64 s[46:47], v46, v46                         // 00000000604C: D048002E 00025D2E
	v_add3_u32 v16, v46, v19, 1                                // 000000006054: D1FF0010 0206272E
	v_cndmask_b32_e64 v4, v16, v18, s[46:47]                   // 00000000605C: D1000004 00BA2510
	v_cmp_u_f32_e64 s[46:47], v47, v47                         // 000000006064: D048002E 00025F2F
	v_add3_u32 v16, v47, v19, 1                                // 00000000606C: D1FF0010 0206272F
	v_cndmask_b32_e64 v5, v16, v18, s[46:47]                   // 000000006074: D1000005 00BA2510
	v_perm_b32 v43, v5, v4, s52                                // 00000000607C: D1ED002B 00D20905
	v_cmp_u_f32_e64 s[46:47], v48, v48                         // 000000006084: D048002E 00026130
	v_add3_u32 v16, v48, v19, 1                                // 00000000608C: D1FF0010 02062730
	v_cndmask_b32_e64 v4, v16, v18, s[46:47]                   // 000000006094: D1000004 00BA2510
	v_cmp_u_f32_e64 s[46:47], v49, v49                         // 00000000609C: D048002E 00026331
	v_add3_u32 v16, v49, v19, 1                                // 0000000060A4: D1FF0010 02062731
	v_cndmask_b32_e64 v5, v16, v18, s[46:47]                   // 0000000060AC: D1000005 00BA2510
	v_perm_b32 v44, v5, v4, s52                                // 0000000060B4: D1ED002C 00D20905
	v_cmp_u_f32_e64 s[46:47], v50, v50                         // 0000000060BC: D048002E 00026532
	v_add3_u32 v16, v50, v19, 1                                // 0000000060C4: D1FF0010 02062732
	v_cndmask_b32_e64 v4, v16, v18, s[46:47]                   // 0000000060CC: D1000004 00BA2510
	v_cmp_u_f32_e64 s[46:47], v51, v51                         // 0000000060D4: D048002E 00026733
	v_add3_u32 v16, v51, v19, 1                                // 0000000060DC: D1FF0010 02062733
	v_cndmask_b32_e64 v5, v16, v18, s[46:47]                   // 0000000060E4: D1000005 00BA2510
	v_perm_b32 v45, v5, v4, s52                                // 0000000060EC: D1ED002D 00D20905
	v_cmp_u_f32_e64 s[46:47], v52, v52                         // 0000000060F4: D048002E 00026934
	v_add3_u32 v16, v52, v19, 1                                // 0000000060FC: D1FF0010 02062734
	v_cndmask_b32_e64 v4, v16, v18, s[46:47]                   // 000000006104: D1000004 00BA2510
	v_cmp_u_f32_e64 s[46:47], v53, v53                         // 00000000610C: D048002E 00026B35
	v_add3_u32 v16, v53, v19, 1                                // 000000006114: D1FF0010 02062735
	v_cndmask_b32_e64 v5, v16, v18, s[46:47]                   // 00000000611C: D1000005 00BA2510
	v_perm_b32 v46, v5, v4, s52                                // 000000006124: D1ED002E 00D20905
	v_cmp_u_f32_e64 s[46:47], v54, v54                         // 00000000612C: D048002E 00026D36
	v_add3_u32 v16, v54, v19, 1                                // 000000006134: D1FF0010 02062736
	v_cndmask_b32_e64 v4, v16, v18, s[46:47]                   // 00000000613C: D1000004 00BA2510
	v_cmp_u_f32_e64 s[46:47], v55, v55                         // 000000006144: D048002E 00026F37
	v_add3_u32 v16, v55, v19, 1                                // 00000000614C: D1FF0010 02062737
	v_cndmask_b32_e64 v5, v16, v18, s[46:47]                   // 000000006154: D1000005 00BA2510
	v_perm_b32 v47, v5, v4, s52                                // 00000000615C: D1ED002F 00D20905
	ds_write_b64 v20, v[40:41]                                 // 000000006164: D89A0000 00002814
	ds_write_b64 v20, v[42:43] offset:2176                     // 00000000616C: D89A0880 00002A14
	ds_write_b64 v20, v[44:45] offset:4352                     // 000000006174: D89A1100 00002C14
	ds_write_b64 v20, v[46:47] offset:6528                     // 00000000617C: D89A1980 00002E14
	v_lshrrev_b32_e32 v4, 5, v0                                // 000000006184: 20080085
	v_xor_b32_e32 v5, 1, v4                                    // 000000006188: 2A0A0881
	s_mul_i32 s60, s65, 2                                      // 00000000618C: 923C8241
	s_cmp_eq_u32 s88, 0                                        // 000000006190: BF068058
	s_cselect_b32 s61, 1, 4                                    // 000000006194: 853D8481
	s_mul_i32 s60, s61, s60                                    // 000000006198: 923C3C3D
	v_readlane_b32 s82, v3, 0                                  // 00000000619C: D2890052 00010103
	s_lshr_b32 s61, s82, 24                                    // 0000000061A4: 8F3D9852
	s_and_b32 s82, s82, 0xffffff                               // 0000000061A8: 8652FF52 00FFFFFF
	s_mul_i32 s82, s82, s71                                    // 0000000061B0: 92524752
	s_mul_i32 s61, s60, s61                                    // 0000000061B4: 923D3D3C
	s_add_u32 s82, s82, s61                                    // 0000000061B8: 80523D52
	v_mul_lo_u32 v6, v5, s82                                   // 0000000061BC: D2850006 0000A505
	v_readlane_b32 s82, v3, 1                                  // 0000000061C4: D2890052 00010303
	s_lshr_b32 s61, s82, 24                                    // 0000000061CC: 8F3D9852
	s_and_b32 s82, s82, 0xffffff                               // 0000000061D0: 8652FF52 00FFFFFF
	s_mul_i32 s82, s82, s71                                    // 0000000061D8: 92524752
	s_mul_i32 s61, s60, s61                                    // 0000000061DC: 923D3D3C
	s_add_u32 s82, s82, s61                                    // 0000000061E0: 80523D52
	v_mul_lo_u32 v7, v4, s82                                   // 0000000061E4: D2850007 0000A504
	v_add_u32_e32 v34, v6, v7                                  // 0000000061EC: 68440F06
	v_readlane_b32 s82, v3, 2                                  // 0000000061F0: D2890052 00010503
	s_lshr_b32 s61, s82, 24                                    // 0000000061F8: 8F3D9852
	s_and_b32 s82, s82, 0xffffff                               // 0000000061FC: 8652FF52 00FFFFFF
	s_mul_i32 s82, s82, s71                                    // 000000006204: 92524752
	s_mul_i32 s61, s60, s61                                    // 000000006208: 923D3D3C
	s_add_u32 s82, s82, s61                                    // 00000000620C: 80523D52
	v_mul_lo_u32 v6, v5, s82                                   // 000000006210: D2850006 0000A505
	v_readlane_b32 s82, v3, 3                                  // 000000006218: D2890052 00010703
	s_lshr_b32 s61, s82, 24                                    // 000000006220: 8F3D9852
	s_and_b32 s82, s82, 0xffffff                               // 000000006224: 8652FF52 00FFFFFF
	s_mul_i32 s82, s82, s71                                    // 00000000622C: 92524752
	s_mul_i32 s61, s60, s61                                    // 000000006230: 923D3D3C
	s_add_u32 s82, s82, s61                                    // 000000006234: 80523D52
	v_mul_lo_u32 v7, v4, s82                                   // 000000006238: D2850007 0000A504
	v_add_u32_e32 v35, v6, v7                                  // 000000006240: 68460F06
	v_and_b32_e32 v4, 31, v0                                   // 000000006244: 2608009F
	v_lshrrev_b32_e32 v4, 1, v4                                // 000000006248: 20080881
	s_cmp_eq_u32 s88, 0                                        // 00000000624C: BF068058
	s_cselect_b32 s61, 2, 4                                    // 000000006250: 853D8482
	v_mul_lo_u32 v4, v4, s61                                   // 000000006254: D2850004 00007B04
	v_and_b32_e64 v5, v0, 1                                    // 00000000625C: D1130005 00010300
	v_add_u32_e32 v4, v4, v5                                   // 000000006264: 68080B04
	v_lshlrev_b32_e32 v4, 2, v4                                // 000000006268: 24080882
	v_add_u32_e32 v34, v34, v4                                 // 00000000626C: 68440922
	v_add_u32_e32 v35, v35, v4                                 // 000000006270: 68460923
	s_waitcnt lgkmcnt(0)                                       // 000000006274: BF8CC07F
	s_barrier                                                  // 000000006278: BF8A0000
	ds_read_b32 v40, v21                                       // 00000000627C: D86C0000 28000015
	ds_read_b32 v41, v21 offset:64                             // 000000006284: D86C0040 29000015
	ds_read_b32 v42, v21 offset:2176                           // 00000000628C: D86C0880 2A000015
	ds_read_b32 v43, v21 offset:2240                           // 000000006294: D86C08C0 2B000015
	ds_read_b32 v44, v21 offset:4352                           // 00000000629C: D86C1100 2C000015
	ds_read_b32 v45, v21 offset:4416                           // 0000000062A4: D86C1140 2D000015
	ds_read_b32 v46, v21 offset:6528                           // 0000000062AC: D86C1980 2E000015
	ds_read_b32 v47, v21 offset:6592                           // 0000000062B4: D86C19C0 2F000015
	s_waitcnt lgkmcnt(0)                                       // 0000000062BC: BF8CC07F
	s_mov_b32 s36, -1                                          // 0000000062C0: BEA400C1
	s_mov_b32 s37, -1                                          // 0000000062C4: BEA500C1
	v_mov_b32_e32 v7, 0                                        // 0000000062C8: 7E0E0280
	s_or_b32 s9, s9, 0x40000                                   // 0000000062CC: 8709FF09 00040000
	s_mov_b64 exec, s[36:37]                                   // 0000000062D4: BEFE0124
	v_mov_b32_e32 v6, v34                                      // 0000000062D8: 7E0C0322
	s_mov_b64 s[60:61], 0                                      // 0000000062DC: BEBC0180
	v_readlane_b32 s82, v3, 0                                  // 0000000062E0: D2890052 00010103
	s_and_b32 s82, s82, 0xffffff                               // 0000000062E8: 8652FF52 00FFFFFF
	s_cmp_lt_u32 s82, s66                                      // 0000000062F0: BF0A4252
	s_cselect_b32 s20, s36, s60                                // 0000000062F4: 85143C24
	v_readlane_b32 s82, v3, 1                                  // 0000000062F8: D2890052 00010303
	s_and_b32 s82, s82, 0xffffff                               // 000000006300: 8652FF52 00FFFFFF
	s_cmp_lt_u32 s82, s66                                      // 000000006308: BF0A4252
	s_cselect_b32 s21, s36, s60                                // 00000000630C: 85153C24
	s_mov_b64 exec, s[20:21]                                   // 000000006310: BEFE0114
	buffer_store_dword v40, v6, s[8:11], 0 offen               // 000000006314: E0701000 80022806
	buffer_store_dword v42, v6, s[8:11], 0 offen offset:128    // 00000000631C: E0701080 80022A06
	buffer_store_dword v44, v6, s[8:11], 0 offen offset:256    // 000000006324: E0701100 80022C06
	buffer_store_dword v46, v6, s[8:11], 0 offen offset:384    // 00000000632C: E0701180 80022E06
	s_mov_b64 exec, s[36:37]                                   // 000000006334: BEFE0124
	v_mov_b32_e32 v6, v35                                      // 000000006338: 7E0C0323
	s_mov_b64 s[60:61], 0                                      // 00000000633C: BEBC0180
	v_readlane_b32 s82, v3, 2                                  // 000000006340: D2890052 00010503
	s_and_b32 s82, s82, 0xffffff                               // 000000006348: 8652FF52 00FFFFFF
	s_cmp_lt_u32 s82, s66                                      // 000000006350: BF0A4252
	s_cselect_b32 s20, s36, s60                                // 000000006354: 85143C24
	v_readlane_b32 s82, v3, 3                                  // 000000006358: D2890052 00010703
	s_and_b32 s82, s82, 0xffffff                               // 000000006360: 8652FF52 00FFFFFF
	s_cmp_lt_u32 s82, s66                                      // 000000006368: BF0A4252
	s_cselect_b32 s21, s36, s60                                // 00000000636C: 85153C24
	s_mov_b64 exec, s[20:21]                                   // 000000006370: BEFE0114
	buffer_store_dword v41, v6, s[8:11], 0 offen               // 000000006374: E0701000 80022906
	buffer_store_dword v43, v6, s[8:11], 0 offen offset:128    // 00000000637C: E0701080 80022B06
	buffer_store_dword v45, v6, s[8:11], 0 offen offset:256    // 000000006384: E0701100 80022D06
	buffer_store_dword v47, v6, s[8:11], 0 offen offset:384    // 00000000638C: E0701180 80022F06
	s_mov_b64 exec, s[36:37]                                   // 000000006394: BEFE0124
	s_branch label_0FE0                                        // 000000006398: BF820176

000000000000639c <label_0E6A>:
	ds_write_b64 v20, v[40:41]                                 // 00000000639C: D89A0000 00002814
	ds_write_b64 v20, v[44:45] offset:2176                     // 0000000063A4: D89A0880 00002C14
	ds_write_b64 v20, v[48:49] offset:4352                     // 0000000063AC: D89A1100 00003014
	ds_write_b64 v20, v[52:53] offset:6528                     // 0000000063B4: D89A1980 00003414
	v_lshrrev_b32_e32 v4, 5, v0                                // 0000000063BC: 20080085
	v_xor_b32_e32 v5, 1, v4                                    // 0000000063C0: 2A0A0881
	s_mul_i32 s60, s65, 2                                      // 0000000063C4: 923C8241
	s_cmp_eq_u32 s88, 0                                        // 0000000063C8: BF068058
	s_cselect_b32 s61, 1, 4                                    // 0000000063CC: 853D8481
	s_mul_i32 s60, s61, s60                                    // 0000000063D0: 923C3C3D
	v_readlane_b32 s82, v3, 0                                  // 0000000063D4: D2890052 00010103
	s_lshr_b32 s61, s82, 24                                    // 0000000063DC: 8F3D9852
	s_and_b32 s82, s82, 0xffffff                               // 0000000063E0: 8652FF52 00FFFFFF
	s_mul_i32 s82, s82, s71                                    // 0000000063E8: 92524752
	s_mul_i32 s61, s60, s61                                    // 0000000063EC: 923D3D3C
	s_add_u32 s82, s82, s61                                    // 0000000063F0: 80523D52
	v_mul_lo_u32 v6, v5, s82                                   // 0000000063F4: D2850006 0000A505
	v_readlane_b32 s82, v3, 1                                  // 0000000063FC: D2890052 00010303
	s_lshr_b32 s61, s82, 24                                    // 000000006404: 8F3D9852
	s_and_b32 s82, s82, 0xffffff                               // 000000006408: 8652FF52 00FFFFFF
	s_mul_i32 s82, s82, s71                                    // 000000006410: 92524752
	s_mul_i32 s61, s60, s61                                    // 000000006414: 923D3D3C
	s_add_u32 s82, s82, s61                                    // 000000006418: 80523D52
	v_mul_lo_u32 v7, v4, s82                                   // 00000000641C: D2850007 0000A504
	v_add_u32_e32 v34, v6, v7                                  // 000000006424: 68440F06
	v_readlane_b32 s82, v3, 2                                  // 000000006428: D2890052 00010503
	s_lshr_b32 s61, s82, 24                                    // 000000006430: 8F3D9852
	s_and_b32 s82, s82, 0xffffff                               // 000000006434: 8652FF52 00FFFFFF
	s_mul_i32 s82, s82, s71                                    // 00000000643C: 92524752
	s_mul_i32 s61, s60, s61                                    // 000000006440: 923D3D3C
	s_add_u32 s82, s82, s61                                    // 000000006444: 80523D52
	v_mul_lo_u32 v6, v5, s82                                   // 000000006448: D2850006 0000A505
	v_readlane_b32 s82, v3, 3                                  // 000000006450: D2890052 00010703
	s_lshr_b32 s61, s82, 24                                    // 000000006458: 8F3D9852
	s_and_b32 s82, s82, 0xffffff                               // 00000000645C: 8652FF52 00FFFFFF
	s_mul_i32 s82, s82, s71                                    // 000000006464: 92524752
	s_mul_i32 s61, s60, s61                                    // 000000006468: 923D3D3C
	s_add_u32 s82, s82, s61                                    // 00000000646C: 80523D52
	v_mul_lo_u32 v7, v4, s82                                   // 000000006470: D2850007 0000A504
	v_add_u32_e32 v35, v6, v7                                  // 000000006478: 68460F06
	v_and_b32_e32 v4, 31, v0                                   // 00000000647C: 2608009F
	v_lshrrev_b32_e32 v4, 1, v4                                // 000000006480: 20080881
	s_cmp_eq_u32 s88, 0                                        // 000000006484: BF068058
	s_cselect_b32 s61, 2, 4                                    // 000000006488: 853D8482
	v_mul_lo_u32 v4, v4, s61                                   // 00000000648C: D2850004 00007B04
	v_and_b32_e64 v5, v0, 1                                    // 000000006494: D1130005 00010300
	v_add_u32_e32 v4, v4, v5                                   // 00000000649C: 68080B04
	v_lshlrev_b32_e32 v4, 2, v4                                // 0000000064A0: 24080882
	v_add_u32_e32 v34, v34, v4                                 // 0000000064A4: 68440922
	v_add_u32_e32 v35, v35, v4                                 // 0000000064A8: 68460923
	s_waitcnt lgkmcnt(0)                                       // 0000000064AC: BF8CC07F
	s_barrier                                                  // 0000000064B0: BF8A0000
	ds_read_b32 v40, v21                                       // 0000000064B4: D86C0000 28000015
	ds_read_b32 v41, v21 offset:64                             // 0000000064BC: D86C0040 29000015
	ds_read_b32 v44, v21 offset:2176                           // 0000000064C4: D86C0880 2C000015
	ds_read_b32 v45, v21 offset:2240                           // 0000000064CC: D86C08C0 2D000015
	ds_read_b32 v48, v21 offset:4352                           // 0000000064D4: D86C1100 30000015
	ds_read_b32 v49, v21 offset:4416                           // 0000000064DC: D86C1140 31000015
	ds_read_b32 v52, v21 offset:6528                           // 0000000064E4: D86C1980 34000015
	ds_read_b32 v53, v21 offset:6592                           // 0000000064EC: D86C19C0 35000015
	s_waitcnt lgkmcnt(0)                                       // 0000000064F4: BF8CC07F
	s_mov_b32 s36, -1                                          // 0000000064F8: BEA400C1
	s_mov_b32 s37, -1                                          // 0000000064FC: BEA500C1
	v_mov_b32_e32 v7, 0                                        // 000000006500: 7E0E0280
	s_mov_b64 exec, s[36:37]                                   // 000000006504: BEFE0124
	v_mov_b32_e32 v6, v34                                      // 000000006508: 7E0C0322
	s_mov_b64 s[60:61], 0                                      // 00000000650C: BEBC0180
	v_readlane_b32 s82, v3, 0                                  // 000000006510: D2890052 00010103
	s_and_b32 s82, s82, 0xffffff                               // 000000006518: 8652FF52 00FFFFFF
	s_cmp_lt_u32 s82, s66                                      // 000000006520: BF0A4252
	s_cselect_b32 s20, s36, s60                                // 000000006524: 85143C24
	v_readlane_b32 s82, v3, 1                                  // 000000006528: D2890052 00010303
	s_and_b32 s82, s82, 0xffffff                               // 000000006530: 8652FF52 00FFFFFF
	s_cmp_lt_u32 s82, s66                                      // 000000006538: BF0A4252
	s_cselect_b32 s21, s36, s60                                // 00000000653C: 85153C24
	s_mov_b64 exec, s[20:21]                                   // 000000006540: BEFE0114
	global_atomic_add_f32 v6, v40, s[8:9]                      // 000000006544: DD348000 00082806
	global_atomic_add_f32 v6, v44, s[8:9] offset:256           // 00000000654C: DD348100 00082C06
	global_atomic_add_f32 v6, v48, s[8:9] offset:512           // 000000006554: DD348200 00083006
	global_atomic_add_f32 v6, v52, s[8:9] offset:768           // 00000000655C: DD348300 00083406
	s_mov_b64 exec, s[36:37]                                   // 000000006564: BEFE0124
	v_mov_b32_e32 v6, v35                                      // 000000006568: 7E0C0323
	s_mov_b64 s[60:61], 0                                      // 00000000656C: BEBC0180
	v_readlane_b32 s82, v3, 2                                  // 000000006570: D2890052 00010503
	s_and_b32 s82, s82, 0xffffff                               // 000000006578: 8652FF52 00FFFFFF
	s_cmp_lt_u32 s82, s66                                      // 000000006580: BF0A4252
	s_cselect_b32 s20, s36, s60                                // 000000006584: 85143C24
	v_readlane_b32 s82, v3, 3                                  // 000000006588: D2890052 00010703
	s_and_b32 s82, s82, 0xffffff                               // 000000006590: 8652FF52 00FFFFFF
	s_cmp_lt_u32 s82, s66                                      // 000000006598: BF0A4252
	s_cselect_b32 s21, s36, s60                                // 00000000659C: 85153C24
	s_mov_b64 exec, s[20:21]                                   // 0000000065A0: BEFE0114
	global_atomic_add_f32 v6, v41, s[8:9]                      // 0000000065A4: DD348000 00082906
	global_atomic_add_f32 v6, v45, s[8:9] offset:256           // 0000000065AC: DD348100 00082D06
	global_atomic_add_f32 v6, v49, s[8:9] offset:512           // 0000000065B4: DD348200 00083106
	global_atomic_add_f32 v6, v53, s[8:9] offset:768           // 0000000065BC: DD348300 00083506
	s_mov_b64 exec, s[36:37]                                   // 0000000065C4: BEFE0124
	ds_write_b64 v20, v[42:43]                                 // 0000000065C8: D89A0000 00002A14
	ds_write_b64 v20, v[46:47] offset:2176                     // 0000000065D0: D89A0880 00002E14
	ds_write_b64 v20, v[50:51] offset:4352                     // 0000000065D8: D89A1100 00003214
	ds_write_b64 v20, v[54:55] offset:6528                     // 0000000065E0: D89A1980 00003614
	s_waitcnt lgkmcnt(0)                                       // 0000000065E8: BF8CC07F
	s_barrier                                                  // 0000000065EC: BF8A0000
	ds_read_b32 v42, v21                                       // 0000000065F0: D86C0000 2A000015
	ds_read_b32 v43, v21 offset:64                             // 0000000065F8: D86C0040 2B000015
	ds_read_b32 v46, v21 offset:2176                           // 000000006600: D86C0880 2E000015
	ds_read_b32 v47, v21 offset:2240                           // 000000006608: D86C08C0 2F000015
	ds_read_b32 v50, v21 offset:4352                           // 000000006610: D86C1100 32000015
	ds_read_b32 v51, v21 offset:4416                           // 000000006618: D86C1140 33000015
	ds_read_b32 v54, v21 offset:6528                           // 000000006620: D86C1980 36000015
	ds_read_b32 v55, v21 offset:6592                           // 000000006628: D86C19C0 37000015
	s_waitcnt lgkmcnt(0)                                       // 000000006630: BF8CC07F
	v_mov_b32_e32 v7, 0                                        // 000000006634: 7E0E0280
	s_mov_b64 exec, s[36:37]                                   // 000000006638: BEFE0124
	v_mov_b32_e32 v6, v34                                      // 00000000663C: 7E0C0322
	s_mov_b64 s[60:61], 0                                      // 000000006640: BEBC0180
	v_readlane_b32 s82, v3, 0                                  // 000000006644: D2890052 00010103
	s_and_b32 s82, s82, 0xffffff                               // 00000000664C: 8652FF52 00FFFFFF
	s_cmp_lt_u32 s82, s66                                      // 000000006654: BF0A4252
	s_cselect_b32 s20, s36, s60                                // 000000006658: 85143C24
	v_readlane_b32 s82, v3, 1                                  // 00000000665C: D2890052 00010303
	s_and_b32 s82, s82, 0xffffff                               // 000000006664: 8652FF52 00FFFFFF
	s_cmp_lt_u32 s82, s66                                      // 00000000666C: BF0A4252
	s_cselect_b32 s21, s36, s60                                // 000000006670: 85153C24
	s_mov_b64 exec, s[20:21]                                   // 000000006674: BEFE0114
	global_atomic_add_f32 v6, v42, s[8:9] offset:8             // 000000006678: DD348008 00082A06
	global_atomic_add_f32 v6, v46, s[8:9] offset:264           // 000000006680: DD348108 00082E06
	global_atomic_add_f32 v6, v50, s[8:9] offset:520           // 000000006688: DD348208 00083206
	global_atomic_add_f32 v6, v54, s[8:9] offset:776           // 000000006690: DD348308 00083606
	s_mov_b64 exec, s[36:37]                                   // 000000006698: BEFE0124
	v_mov_b32_e32 v6, v35                                      // 00000000669C: 7E0C0323
	s_mov_b64 s[60:61], 0                                      // 0000000066A0: BEBC0180
	v_readlane_b32 s82, v3, 2                                  // 0000000066A4: D2890052 00010503
	s_and_b32 s82, s82, 0xffffff                               // 0000000066AC: 8652FF52 00FFFFFF
	s_cmp_lt_u32 s82, s66                                      // 0000000066B4: BF0A4252
	s_cselect_b32 s20, s36, s60                                // 0000000066B8: 85143C24
	v_readlane_b32 s82, v3, 3                                  // 0000000066BC: D2890052 00010703
	s_and_b32 s82, s82, 0xffffff                               // 0000000066C4: 8652FF52 00FFFFFF
	s_cmp_lt_u32 s82, s66                                      // 0000000066CC: BF0A4252
	s_cselect_b32 s21, s36, s60                                // 0000000066D0: 85153C24
	s_mov_b64 exec, s[20:21]                                   // 0000000066D4: BEFE0114
	global_atomic_add_f32 v6, v43, s[8:9] offset:8             // 0000000066D8: DD348008 00082B06
	global_atomic_add_f32 v6, v47, s[8:9] offset:264           // 0000000066E0: DD348108 00082F06
	global_atomic_add_f32 v6, v51, s[8:9] offset:520           // 0000000066E8: DD348208 00083306
	global_atomic_add_f32 v6, v55, s[8:9] offset:776           // 0000000066F0: DD348308 00083706
	s_mov_b64 exec, s[36:37]                                   // 0000000066F8: BEFE0124
	ds_write_b64 v20, v[56:57]                                 // 0000000066FC: D89A0000 00003814
	ds_write_b64 v20, v[60:61] offset:2176                     // 000000006704: D89A0880 00003C14
	ds_write_b64 v20, v[64:65] offset:4352                     // 00000000670C: D89A1100 00004014
	ds_write_b64 v20, v[68:69] offset:6528                     // 000000006714: D89A1980 00004414
	s_waitcnt lgkmcnt(0)                                       // 00000000671C: BF8CC07F
	s_barrier                                                  // 000000006720: BF8A0000
	ds_read_b32 v56, v21                                       // 000000006724: D86C0000 38000015
	ds_read_b32 v57, v21 offset:64                             // 00000000672C: D86C0040 39000015
	ds_read_b32 v60, v21 offset:2176                           // 000000006734: D86C0880 3C000015
	ds_read_b32 v61, v21 offset:2240                           // 00000000673C: D86C08C0 3D000015
	ds_read_b32 v64, v21 offset:4352                           // 000000006744: D86C1100 40000015
	ds_read_b32 v65, v21 offset:4416                           // 00000000674C: D86C1140 41000015
	ds_read_b32 v68, v21 offset:6528                           // 000000006754: D86C1980 44000015
	ds_read_b32 v69, v21 offset:6592                           // 00000000675C: D86C19C0 45000015
	s_mul_i32 s60, s65, 4                                      // 000000006764: 923C8441
	s_add_u32 s8, s60, s8                                      // 000000006768: 8008083C
	s_addc_u32 s9, 0, s9                                       // 00000000676C: 82090980
	s_waitcnt lgkmcnt(0)                                       // 000000006770: BF8CC07F
	v_mov_b32_e32 v7, 0                                        // 000000006774: 7E0E0280
	s_mov_b64 exec, s[36:37]                                   // 000000006778: BEFE0124
	v_mov_b32_e32 v6, v34                                      // 00000000677C: 7E0C0322
	s_mov_b64 s[60:61], 0                                      // 000000006780: BEBC0180
	v_readlane_b32 s82, v3, 0                                  // 000000006784: D2890052 00010103
	s_and_b32 s82, s82, 0xffffff                               // 00000000678C: 8652FF52 00FFFFFF
	s_cmp_lt_u32 s82, s66                                      // 000000006794: BF0A4252
	s_cselect_b32 s20, s36, s60                                // 000000006798: 85143C24
	v_readlane_b32 s82, v3, 1                                  // 00000000679C: D2890052 00010303
	s_and_b32 s82, s82, 0xffffff                               // 0000000067A4: 8652FF52 00FFFFFF
	s_cmp_lt_u32 s82, s66                                      // 0000000067AC: BF0A4252
	s_cselect_b32 s21, s36, s60                                // 0000000067B0: 85153C24
	s_mov_b64 exec, s[20:21]                                   // 0000000067B4: BEFE0114
	global_atomic_add_f32 v6, v56, s[8:9]                      // 0000000067B8: DD348000 00083806
	global_atomic_add_f32 v6, v60, s[8:9] offset:256           // 0000000067C0: DD348100 00083C06
	global_atomic_add_f32 v6, v64, s[8:9] offset:512           // 0000000067C8: DD348200 00084006
	global_atomic_add_f32 v6, v68, s[8:9] offset:768           // 0000000067D0: DD348300 00084406
	s_mov_b64 exec, s[36:37]                                   // 0000000067D8: BEFE0124
	v_mov_b32_e32 v6, v35                                      // 0000000067DC: 7E0C0323
	s_mov_b64 s[60:61], 0                                      // 0000000067E0: BEBC0180
	v_readlane_b32 s82, v3, 2                                  // 0000000067E4: D2890052 00010503
	s_and_b32 s82, s82, 0xffffff                               // 0000000067EC: 8652FF52 00FFFFFF
	s_cmp_lt_u32 s82, s66                                      // 0000000067F4: BF0A4252
	s_cselect_b32 s20, s36, s60                                // 0000000067F8: 85143C24
	v_readlane_b32 s82, v3, 3                                  // 0000000067FC: D2890052 00010703
	s_and_b32 s82, s82, 0xffffff                               // 000000006804: 8652FF52 00FFFFFF
	s_cmp_lt_u32 s82, s66                                      // 00000000680C: BF0A4252
	s_cselect_b32 s21, s36, s60                                // 000000006810: 85153C24
	s_mov_b64 exec, s[20:21]                                   // 000000006814: BEFE0114
	global_atomic_add_f32 v6, v57, s[8:9]                      // 000000006818: DD348000 00083906
	global_atomic_add_f32 v6, v61, s[8:9] offset:256           // 000000006820: DD348100 00083D06
	global_atomic_add_f32 v6, v65, s[8:9] offset:512           // 000000006828: DD348200 00084106
	global_atomic_add_f32 v6, v69, s[8:9] offset:768           // 000000006830: DD348300 00084506
	s_mov_b64 exec, s[36:37]                                   // 000000006838: BEFE0124
	ds_write_b64 v20, v[58:59]                                 // 00000000683C: D89A0000 00003A14
	ds_write_b64 v20, v[62:63] offset:2176                     // 000000006844: D89A0880 00003E14
	ds_write_b64 v20, v[66:67] offset:4352                     // 00000000684C: D89A1100 00004214
	ds_write_b64 v20, v[70:71] offset:6528                     // 000000006854: D89A1980 00004614
	s_waitcnt lgkmcnt(0)                                       // 00000000685C: BF8CC07F
	s_barrier                                                  // 000000006860: BF8A0000
	ds_read_b32 v58, v21                                       // 000000006864: D86C0000 3A000015
	ds_read_b32 v59, v21 offset:64                             // 00000000686C: D86C0040 3B000015
	ds_read_b32 v62, v21 offset:2176                           // 000000006874: D86C0880 3E000015
	ds_read_b32 v63, v21 offset:2240                           // 00000000687C: D86C08C0 3F000015
	ds_read_b32 v66, v21 offset:4352                           // 000000006884: D86C1100 42000015
	ds_read_b32 v67, v21 offset:4416                           // 00000000688C: D86C1140 43000015
	ds_read_b32 v70, v21 offset:6528                           // 000000006894: D86C1980 46000015
	ds_read_b32 v71, v21 offset:6592                           // 00000000689C: D86C19C0 47000015
	s_waitcnt lgkmcnt(0)                                       // 0000000068A4: BF8CC07F
	v_mov_b32_e32 v7, 0                                        // 0000000068A8: 7E0E0280
	s_mov_b64 exec, s[36:37]                                   // 0000000068AC: BEFE0124
	v_mov_b32_e32 v6, v34                                      // 0000000068B0: 7E0C0322
	s_mov_b64 s[60:61], 0                                      // 0000000068B4: BEBC0180
	v_readlane_b32 s82, v3, 0                                  // 0000000068B8: D2890052 00010103
	s_and_b32 s82, s82, 0xffffff                               // 0000000068C0: 8652FF52 00FFFFFF
	s_cmp_lt_u32 s82, s66                                      // 0000000068C8: BF0A4252
	s_cselect_b32 s20, s36, s60                                // 0000000068CC: 85143C24
	v_readlane_b32 s82, v3, 1                                  // 0000000068D0: D2890052 00010303
	s_and_b32 s82, s82, 0xffffff                               // 0000000068D8: 8652FF52 00FFFFFF
	s_cmp_lt_u32 s82, s66                                      // 0000000068E0: BF0A4252
	s_cselect_b32 s21, s36, s60                                // 0000000068E4: 85153C24
	s_mov_b64 exec, s[20:21]                                   // 0000000068E8: BEFE0114
	global_atomic_add_f32 v6, v58, s[8:9] offset:8             // 0000000068EC: DD348008 00083A06
	global_atomic_add_f32 v6, v62, s[8:9] offset:264           // 0000000068F4: DD348108 00083E06
	global_atomic_add_f32 v6, v66, s[8:9] offset:520           // 0000000068FC: DD348208 00084206
	global_atomic_add_f32 v6, v70, s[8:9] offset:776           // 000000006904: DD348308 00084606
	s_mov_b64 exec, s[36:37]                                   // 00000000690C: BEFE0124
	v_mov_b32_e32 v6, v35                                      // 000000006910: 7E0C0323
	s_mov_b64 s[60:61], 0                                      // 000000006914: BEBC0180
	v_readlane_b32 s82, v3, 2                                  // 000000006918: D2890052 00010503
	s_and_b32 s82, s82, 0xffffff                               // 000000006920: 8652FF52 00FFFFFF
	s_cmp_lt_u32 s82, s66                                      // 000000006928: BF0A4252
	s_cselect_b32 s20, s36, s60                                // 00000000692C: 85143C24
	v_readlane_b32 s82, v3, 3                                  // 000000006930: D2890052 00010703
	s_and_b32 s82, s82, 0xffffff                               // 000000006938: 8652FF52 00FFFFFF
	s_cmp_lt_u32 s82, s66                                      // 000000006940: BF0A4252
	s_cselect_b32 s21, s36, s60                                // 000000006944: 85153C24
	s_mov_b64 exec, s[20:21]                                   // 000000006948: BEFE0114
	global_atomic_add_f32 v6, v59, s[8:9] offset:8             // 00000000694C: DD348008 00083B06
	global_atomic_add_f32 v6, v63, s[8:9] offset:264           // 000000006954: DD348108 00083F06
	global_atomic_add_f32 v6, v67, s[8:9] offset:520           // 00000000695C: DD348208 00084306
	global_atomic_add_f32 v6, v71, s[8:9] offset:776           // 000000006964: DD348308 00084706
	s_mov_b64 exec, s[36:37]                                   // 00000000696C: BEFE0124
	s_branch label_0FE0                                        // 000000006970: BF820000

0000000000006974 <label_0FE0>:
	s_waitcnt vmcnt(0) expcnt(0) lgkmcnt(0)                    // 000000006974: BF8C0000
	s_endpgm                                                   // 000000006978: BF810000
